;; amdgpu-corpus repo=ROCm/rocSPARSE kind=compiled arch=gfx906 opt=O3
	.amdgcn_target "amdgcn-amd-amdhsa--gfx906"
	.amdhsa_code_object_version 6
	.section	.text._ZN9rocsparseL11gthr_kernelILj512EihEEvT0_PKT1_PS2_PKS1_21rocsparse_index_base_,"axG",@progbits,_ZN9rocsparseL11gthr_kernelILj512EihEEvT0_PKT1_PS2_PKS1_21rocsparse_index_base_,comdat
	.globl	_ZN9rocsparseL11gthr_kernelILj512EihEEvT0_PKT1_PS2_PKS1_21rocsparse_index_base_ ; -- Begin function _ZN9rocsparseL11gthr_kernelILj512EihEEvT0_PKT1_PS2_PKS1_21rocsparse_index_base_
	.p2align	8
	.type	_ZN9rocsparseL11gthr_kernelILj512EihEEvT0_PKT1_PS2_PKS1_21rocsparse_index_base_,@function
_ZN9rocsparseL11gthr_kernelILj512EihEEvT0_PKT1_PS2_PKS1_21rocsparse_index_base_: ; @_ZN9rocsparseL11gthr_kernelILj512EihEEvT0_PKT1_PS2_PKS1_21rocsparse_index_base_
; %bb.0:
	s_load_dword s0, s[4:5], 0x0
	v_lshl_or_b32 v0, s6, 9, v0
	s_waitcnt lgkmcnt(0)
	v_cmp_gt_i32_e32 vcc, s0, v0
	s_and_saveexec_b64 s[0:1], vcc
	s_cbranch_execz .LBB0_2
; %bb.1:
	s_load_dwordx2 s[0:1], s[4:5], 0x18
	v_ashrrev_i32_e32 v1, 31, v0
	v_lshlrev_b64 v[2:3], 2, v[0:1]
	s_waitcnt lgkmcnt(0)
	v_mov_b32_e32 v4, s1
	v_add_co_u32_e32 v2, vcc, s0, v2
	v_addc_co_u32_e32 v3, vcc, v4, v3, vcc
	global_load_dword v2, v[2:3], off
	s_load_dwordx4 s[0:3], s[4:5], 0x8
	s_load_dword s6, s[4:5], 0x20
	s_waitcnt lgkmcnt(0)
	v_mov_b32_e32 v3, s1
	s_waitcnt vmcnt(0)
	v_subrev_u32_e32 v2, s6, v2
	v_ashrrev_i32_e32 v4, 31, v2
	v_add_co_u32_e32 v2, vcc, s0, v2
	v_addc_co_u32_e32 v3, vcc, v3, v4, vcc
	global_load_ubyte v2, v[2:3], off
	v_mov_b32_e32 v3, s3
	v_add_co_u32_e32 v0, vcc, s2, v0
	v_addc_co_u32_e32 v1, vcc, v3, v1, vcc
	s_waitcnt vmcnt(0)
	global_store_byte v[0:1], v2, off
.LBB0_2:
	s_endpgm
	.section	.rodata,"a",@progbits
	.p2align	6, 0x0
	.amdhsa_kernel _ZN9rocsparseL11gthr_kernelILj512EihEEvT0_PKT1_PS2_PKS1_21rocsparse_index_base_
		.amdhsa_group_segment_fixed_size 0
		.amdhsa_private_segment_fixed_size 0
		.amdhsa_kernarg_size 36
		.amdhsa_user_sgpr_count 6
		.amdhsa_user_sgpr_private_segment_buffer 1
		.amdhsa_user_sgpr_dispatch_ptr 0
		.amdhsa_user_sgpr_queue_ptr 0
		.amdhsa_user_sgpr_kernarg_segment_ptr 1
		.amdhsa_user_sgpr_dispatch_id 0
		.amdhsa_user_sgpr_flat_scratch_init 0
		.amdhsa_user_sgpr_private_segment_size 0
		.amdhsa_uses_dynamic_stack 0
		.amdhsa_system_sgpr_private_segment_wavefront_offset 0
		.amdhsa_system_sgpr_workgroup_id_x 1
		.amdhsa_system_sgpr_workgroup_id_y 0
		.amdhsa_system_sgpr_workgroup_id_z 0
		.amdhsa_system_sgpr_workgroup_info 0
		.amdhsa_system_vgpr_workitem_id 0
		.amdhsa_next_free_vgpr 5
		.amdhsa_next_free_sgpr 7
		.amdhsa_reserve_vcc 1
		.amdhsa_reserve_flat_scratch 0
		.amdhsa_float_round_mode_32 0
		.amdhsa_float_round_mode_16_64 0
		.amdhsa_float_denorm_mode_32 3
		.amdhsa_float_denorm_mode_16_64 3
		.amdhsa_dx10_clamp 1
		.amdhsa_ieee_mode 1
		.amdhsa_fp16_overflow 0
		.amdhsa_exception_fp_ieee_invalid_op 0
		.amdhsa_exception_fp_denorm_src 0
		.amdhsa_exception_fp_ieee_div_zero 0
		.amdhsa_exception_fp_ieee_overflow 0
		.amdhsa_exception_fp_ieee_underflow 0
		.amdhsa_exception_fp_ieee_inexact 0
		.amdhsa_exception_int_div_zero 0
	.end_amdhsa_kernel
	.section	.text._ZN9rocsparseL11gthr_kernelILj512EihEEvT0_PKT1_PS2_PKS1_21rocsparse_index_base_,"axG",@progbits,_ZN9rocsparseL11gthr_kernelILj512EihEEvT0_PKT1_PS2_PKS1_21rocsparse_index_base_,comdat
.Lfunc_end0:
	.size	_ZN9rocsparseL11gthr_kernelILj512EihEEvT0_PKT1_PS2_PKS1_21rocsparse_index_base_, .Lfunc_end0-_ZN9rocsparseL11gthr_kernelILj512EihEEvT0_PKT1_PS2_PKS1_21rocsparse_index_base_
                                        ; -- End function
	.set _ZN9rocsparseL11gthr_kernelILj512EihEEvT0_PKT1_PS2_PKS1_21rocsparse_index_base_.num_vgpr, 5
	.set _ZN9rocsparseL11gthr_kernelILj512EihEEvT0_PKT1_PS2_PKS1_21rocsparse_index_base_.num_agpr, 0
	.set _ZN9rocsparseL11gthr_kernelILj512EihEEvT0_PKT1_PS2_PKS1_21rocsparse_index_base_.numbered_sgpr, 7
	.set _ZN9rocsparseL11gthr_kernelILj512EihEEvT0_PKT1_PS2_PKS1_21rocsparse_index_base_.num_named_barrier, 0
	.set _ZN9rocsparseL11gthr_kernelILj512EihEEvT0_PKT1_PS2_PKS1_21rocsparse_index_base_.private_seg_size, 0
	.set _ZN9rocsparseL11gthr_kernelILj512EihEEvT0_PKT1_PS2_PKS1_21rocsparse_index_base_.uses_vcc, 1
	.set _ZN9rocsparseL11gthr_kernelILj512EihEEvT0_PKT1_PS2_PKS1_21rocsparse_index_base_.uses_flat_scratch, 0
	.set _ZN9rocsparseL11gthr_kernelILj512EihEEvT0_PKT1_PS2_PKS1_21rocsparse_index_base_.has_dyn_sized_stack, 0
	.set _ZN9rocsparseL11gthr_kernelILj512EihEEvT0_PKT1_PS2_PKS1_21rocsparse_index_base_.has_recursion, 0
	.set _ZN9rocsparseL11gthr_kernelILj512EihEEvT0_PKT1_PS2_PKS1_21rocsparse_index_base_.has_indirect_call, 0
	.section	.AMDGPU.csdata,"",@progbits
; Kernel info:
; codeLenInByte = 156
; TotalNumSgprs: 11
; NumVgprs: 5
; ScratchSize: 0
; MemoryBound: 0
; FloatMode: 240
; IeeeMode: 1
; LDSByteSize: 0 bytes/workgroup (compile time only)
; SGPRBlocks: 1
; VGPRBlocks: 1
; NumSGPRsForWavesPerEU: 11
; NumVGPRsForWavesPerEU: 5
; Occupancy: 10
; WaveLimiterHint : 1
; COMPUTE_PGM_RSRC2:SCRATCH_EN: 0
; COMPUTE_PGM_RSRC2:USER_SGPR: 6
; COMPUTE_PGM_RSRC2:TRAP_HANDLER: 0
; COMPUTE_PGM_RSRC2:TGID_X_EN: 1
; COMPUTE_PGM_RSRC2:TGID_Y_EN: 0
; COMPUTE_PGM_RSRC2:TGID_Z_EN: 0
; COMPUTE_PGM_RSRC2:TIDIG_COMP_CNT: 0
	.section	.text._ZN9rocsparseL11gthr_kernelILj512EijEEvT0_PKT1_PS2_PKS1_21rocsparse_index_base_,"axG",@progbits,_ZN9rocsparseL11gthr_kernelILj512EijEEvT0_PKT1_PS2_PKS1_21rocsparse_index_base_,comdat
	.globl	_ZN9rocsparseL11gthr_kernelILj512EijEEvT0_PKT1_PS2_PKS1_21rocsparse_index_base_ ; -- Begin function _ZN9rocsparseL11gthr_kernelILj512EijEEvT0_PKT1_PS2_PKS1_21rocsparse_index_base_
	.p2align	8
	.type	_ZN9rocsparseL11gthr_kernelILj512EijEEvT0_PKT1_PS2_PKS1_21rocsparse_index_base_,@function
_ZN9rocsparseL11gthr_kernelILj512EijEEvT0_PKT1_PS2_PKS1_21rocsparse_index_base_: ; @_ZN9rocsparseL11gthr_kernelILj512EijEEvT0_PKT1_PS2_PKS1_21rocsparse_index_base_
; %bb.0:
	s_load_dword s0, s[4:5], 0x0
	v_lshl_or_b32 v0, s6, 9, v0
	s_waitcnt lgkmcnt(0)
	v_cmp_gt_i32_e32 vcc, s0, v0
	s_and_saveexec_b64 s[0:1], vcc
	s_cbranch_execz .LBB1_2
; %bb.1:
	s_load_dwordx2 s[0:1], s[4:5], 0x18
	v_ashrrev_i32_e32 v1, 31, v0
	v_lshlrev_b64 v[0:1], 2, v[0:1]
	s_waitcnt lgkmcnt(0)
	v_mov_b32_e32 v3, s1
	v_add_co_u32_e32 v2, vcc, s0, v0
	v_addc_co_u32_e32 v3, vcc, v3, v1, vcc
	global_load_dword v2, v[2:3], off
	s_load_dwordx4 s[0:3], s[4:5], 0x8
	s_load_dword s6, s[4:5], 0x20
	s_waitcnt lgkmcnt(0)
	v_mov_b32_e32 v4, s1
	s_waitcnt vmcnt(0)
	v_subrev_u32_e32 v2, s6, v2
	v_ashrrev_i32_e32 v3, 31, v2
	v_lshlrev_b64 v[2:3], 2, v[2:3]
	v_add_co_u32_e32 v2, vcc, s0, v2
	v_addc_co_u32_e32 v3, vcc, v4, v3, vcc
	global_load_dword v2, v[2:3], off
	v_mov_b32_e32 v3, s3
	v_add_co_u32_e32 v0, vcc, s2, v0
	v_addc_co_u32_e32 v1, vcc, v3, v1, vcc
	s_waitcnt vmcnt(0)
	global_store_dword v[0:1], v2, off
.LBB1_2:
	s_endpgm
	.section	.rodata,"a",@progbits
	.p2align	6, 0x0
	.amdhsa_kernel _ZN9rocsparseL11gthr_kernelILj512EijEEvT0_PKT1_PS2_PKS1_21rocsparse_index_base_
		.amdhsa_group_segment_fixed_size 0
		.amdhsa_private_segment_fixed_size 0
		.amdhsa_kernarg_size 36
		.amdhsa_user_sgpr_count 6
		.amdhsa_user_sgpr_private_segment_buffer 1
		.amdhsa_user_sgpr_dispatch_ptr 0
		.amdhsa_user_sgpr_queue_ptr 0
		.amdhsa_user_sgpr_kernarg_segment_ptr 1
		.amdhsa_user_sgpr_dispatch_id 0
		.amdhsa_user_sgpr_flat_scratch_init 0
		.amdhsa_user_sgpr_private_segment_size 0
		.amdhsa_uses_dynamic_stack 0
		.amdhsa_system_sgpr_private_segment_wavefront_offset 0
		.amdhsa_system_sgpr_workgroup_id_x 1
		.amdhsa_system_sgpr_workgroup_id_y 0
		.amdhsa_system_sgpr_workgroup_id_z 0
		.amdhsa_system_sgpr_workgroup_info 0
		.amdhsa_system_vgpr_workitem_id 0
		.amdhsa_next_free_vgpr 5
		.amdhsa_next_free_sgpr 7
		.amdhsa_reserve_vcc 1
		.amdhsa_reserve_flat_scratch 0
		.amdhsa_float_round_mode_32 0
		.amdhsa_float_round_mode_16_64 0
		.amdhsa_float_denorm_mode_32 3
		.amdhsa_float_denorm_mode_16_64 3
		.amdhsa_dx10_clamp 1
		.amdhsa_ieee_mode 1
		.amdhsa_fp16_overflow 0
		.amdhsa_exception_fp_ieee_invalid_op 0
		.amdhsa_exception_fp_denorm_src 0
		.amdhsa_exception_fp_ieee_div_zero 0
		.amdhsa_exception_fp_ieee_overflow 0
		.amdhsa_exception_fp_ieee_underflow 0
		.amdhsa_exception_fp_ieee_inexact 0
		.amdhsa_exception_int_div_zero 0
	.end_amdhsa_kernel
	.section	.text._ZN9rocsparseL11gthr_kernelILj512EijEEvT0_PKT1_PS2_PKS1_21rocsparse_index_base_,"axG",@progbits,_ZN9rocsparseL11gthr_kernelILj512EijEEvT0_PKT1_PS2_PKS1_21rocsparse_index_base_,comdat
.Lfunc_end1:
	.size	_ZN9rocsparseL11gthr_kernelILj512EijEEvT0_PKT1_PS2_PKS1_21rocsparse_index_base_, .Lfunc_end1-_ZN9rocsparseL11gthr_kernelILj512EijEEvT0_PKT1_PS2_PKS1_21rocsparse_index_base_
                                        ; -- End function
	.set _ZN9rocsparseL11gthr_kernelILj512EijEEvT0_PKT1_PS2_PKS1_21rocsparse_index_base_.num_vgpr, 5
	.set _ZN9rocsparseL11gthr_kernelILj512EijEEvT0_PKT1_PS2_PKS1_21rocsparse_index_base_.num_agpr, 0
	.set _ZN9rocsparseL11gthr_kernelILj512EijEEvT0_PKT1_PS2_PKS1_21rocsparse_index_base_.numbered_sgpr, 7
	.set _ZN9rocsparseL11gthr_kernelILj512EijEEvT0_PKT1_PS2_PKS1_21rocsparse_index_base_.num_named_barrier, 0
	.set _ZN9rocsparseL11gthr_kernelILj512EijEEvT0_PKT1_PS2_PKS1_21rocsparse_index_base_.private_seg_size, 0
	.set _ZN9rocsparseL11gthr_kernelILj512EijEEvT0_PKT1_PS2_PKS1_21rocsparse_index_base_.uses_vcc, 1
	.set _ZN9rocsparseL11gthr_kernelILj512EijEEvT0_PKT1_PS2_PKS1_21rocsparse_index_base_.uses_flat_scratch, 0
	.set _ZN9rocsparseL11gthr_kernelILj512EijEEvT0_PKT1_PS2_PKS1_21rocsparse_index_base_.has_dyn_sized_stack, 0
	.set _ZN9rocsparseL11gthr_kernelILj512EijEEvT0_PKT1_PS2_PKS1_21rocsparse_index_base_.has_recursion, 0
	.set _ZN9rocsparseL11gthr_kernelILj512EijEEvT0_PKT1_PS2_PKS1_21rocsparse_index_base_.has_indirect_call, 0
	.section	.AMDGPU.csdata,"",@progbits
; Kernel info:
; codeLenInByte = 164
; TotalNumSgprs: 11
; NumVgprs: 5
; ScratchSize: 0
; MemoryBound: 0
; FloatMode: 240
; IeeeMode: 1
; LDSByteSize: 0 bytes/workgroup (compile time only)
; SGPRBlocks: 1
; VGPRBlocks: 1
; NumSGPRsForWavesPerEU: 11
; NumVGPRsForWavesPerEU: 5
; Occupancy: 10
; WaveLimiterHint : 1
; COMPUTE_PGM_RSRC2:SCRATCH_EN: 0
; COMPUTE_PGM_RSRC2:USER_SGPR: 6
; COMPUTE_PGM_RSRC2:TRAP_HANDLER: 0
; COMPUTE_PGM_RSRC2:TGID_X_EN: 1
; COMPUTE_PGM_RSRC2:TGID_Y_EN: 0
; COMPUTE_PGM_RSRC2:TGID_Z_EN: 0
; COMPUTE_PGM_RSRC2:TIDIG_COMP_CNT: 0
	.section	.text._ZN9rocsparseL11gthr_kernelILj512EiaEEvT0_PKT1_PS2_PKS1_21rocsparse_index_base_,"axG",@progbits,_ZN9rocsparseL11gthr_kernelILj512EiaEEvT0_PKT1_PS2_PKS1_21rocsparse_index_base_,comdat
	.globl	_ZN9rocsparseL11gthr_kernelILj512EiaEEvT0_PKT1_PS2_PKS1_21rocsparse_index_base_ ; -- Begin function _ZN9rocsparseL11gthr_kernelILj512EiaEEvT0_PKT1_PS2_PKS1_21rocsparse_index_base_
	.p2align	8
	.type	_ZN9rocsparseL11gthr_kernelILj512EiaEEvT0_PKT1_PS2_PKS1_21rocsparse_index_base_,@function
_ZN9rocsparseL11gthr_kernelILj512EiaEEvT0_PKT1_PS2_PKS1_21rocsparse_index_base_: ; @_ZN9rocsparseL11gthr_kernelILj512EiaEEvT0_PKT1_PS2_PKS1_21rocsparse_index_base_
; %bb.0:
	s_load_dword s0, s[4:5], 0x0
	v_lshl_or_b32 v0, s6, 9, v0
	s_waitcnt lgkmcnt(0)
	v_cmp_gt_i32_e32 vcc, s0, v0
	s_and_saveexec_b64 s[0:1], vcc
	s_cbranch_execz .LBB2_2
; %bb.1:
	s_load_dwordx2 s[0:1], s[4:5], 0x18
	v_ashrrev_i32_e32 v1, 31, v0
	v_lshlrev_b64 v[2:3], 2, v[0:1]
	s_waitcnt lgkmcnt(0)
	v_mov_b32_e32 v4, s1
	v_add_co_u32_e32 v2, vcc, s0, v2
	v_addc_co_u32_e32 v3, vcc, v4, v3, vcc
	global_load_dword v2, v[2:3], off
	s_load_dwordx4 s[0:3], s[4:5], 0x8
	s_load_dword s6, s[4:5], 0x20
	s_waitcnt lgkmcnt(0)
	v_mov_b32_e32 v3, s1
	s_waitcnt vmcnt(0)
	v_subrev_u32_e32 v2, s6, v2
	v_ashrrev_i32_e32 v4, 31, v2
	v_add_co_u32_e32 v2, vcc, s0, v2
	v_addc_co_u32_e32 v3, vcc, v3, v4, vcc
	global_load_ubyte v2, v[2:3], off
	v_mov_b32_e32 v3, s3
	v_add_co_u32_e32 v0, vcc, s2, v0
	v_addc_co_u32_e32 v1, vcc, v3, v1, vcc
	s_waitcnt vmcnt(0)
	global_store_byte v[0:1], v2, off
.LBB2_2:
	s_endpgm
	.section	.rodata,"a",@progbits
	.p2align	6, 0x0
	.amdhsa_kernel _ZN9rocsparseL11gthr_kernelILj512EiaEEvT0_PKT1_PS2_PKS1_21rocsparse_index_base_
		.amdhsa_group_segment_fixed_size 0
		.amdhsa_private_segment_fixed_size 0
		.amdhsa_kernarg_size 36
		.amdhsa_user_sgpr_count 6
		.amdhsa_user_sgpr_private_segment_buffer 1
		.amdhsa_user_sgpr_dispatch_ptr 0
		.amdhsa_user_sgpr_queue_ptr 0
		.amdhsa_user_sgpr_kernarg_segment_ptr 1
		.amdhsa_user_sgpr_dispatch_id 0
		.amdhsa_user_sgpr_flat_scratch_init 0
		.amdhsa_user_sgpr_private_segment_size 0
		.amdhsa_uses_dynamic_stack 0
		.amdhsa_system_sgpr_private_segment_wavefront_offset 0
		.amdhsa_system_sgpr_workgroup_id_x 1
		.amdhsa_system_sgpr_workgroup_id_y 0
		.amdhsa_system_sgpr_workgroup_id_z 0
		.amdhsa_system_sgpr_workgroup_info 0
		.amdhsa_system_vgpr_workitem_id 0
		.amdhsa_next_free_vgpr 5
		.amdhsa_next_free_sgpr 7
		.amdhsa_reserve_vcc 1
		.amdhsa_reserve_flat_scratch 0
		.amdhsa_float_round_mode_32 0
		.amdhsa_float_round_mode_16_64 0
		.amdhsa_float_denorm_mode_32 3
		.amdhsa_float_denorm_mode_16_64 3
		.amdhsa_dx10_clamp 1
		.amdhsa_ieee_mode 1
		.amdhsa_fp16_overflow 0
		.amdhsa_exception_fp_ieee_invalid_op 0
		.amdhsa_exception_fp_denorm_src 0
		.amdhsa_exception_fp_ieee_div_zero 0
		.amdhsa_exception_fp_ieee_overflow 0
		.amdhsa_exception_fp_ieee_underflow 0
		.amdhsa_exception_fp_ieee_inexact 0
		.amdhsa_exception_int_div_zero 0
	.end_amdhsa_kernel
	.section	.text._ZN9rocsparseL11gthr_kernelILj512EiaEEvT0_PKT1_PS2_PKS1_21rocsparse_index_base_,"axG",@progbits,_ZN9rocsparseL11gthr_kernelILj512EiaEEvT0_PKT1_PS2_PKS1_21rocsparse_index_base_,comdat
.Lfunc_end2:
	.size	_ZN9rocsparseL11gthr_kernelILj512EiaEEvT0_PKT1_PS2_PKS1_21rocsparse_index_base_, .Lfunc_end2-_ZN9rocsparseL11gthr_kernelILj512EiaEEvT0_PKT1_PS2_PKS1_21rocsparse_index_base_
                                        ; -- End function
	.set _ZN9rocsparseL11gthr_kernelILj512EiaEEvT0_PKT1_PS2_PKS1_21rocsparse_index_base_.num_vgpr, 5
	.set _ZN9rocsparseL11gthr_kernelILj512EiaEEvT0_PKT1_PS2_PKS1_21rocsparse_index_base_.num_agpr, 0
	.set _ZN9rocsparseL11gthr_kernelILj512EiaEEvT0_PKT1_PS2_PKS1_21rocsparse_index_base_.numbered_sgpr, 7
	.set _ZN9rocsparseL11gthr_kernelILj512EiaEEvT0_PKT1_PS2_PKS1_21rocsparse_index_base_.num_named_barrier, 0
	.set _ZN9rocsparseL11gthr_kernelILj512EiaEEvT0_PKT1_PS2_PKS1_21rocsparse_index_base_.private_seg_size, 0
	.set _ZN9rocsparseL11gthr_kernelILj512EiaEEvT0_PKT1_PS2_PKS1_21rocsparse_index_base_.uses_vcc, 1
	.set _ZN9rocsparseL11gthr_kernelILj512EiaEEvT0_PKT1_PS2_PKS1_21rocsparse_index_base_.uses_flat_scratch, 0
	.set _ZN9rocsparseL11gthr_kernelILj512EiaEEvT0_PKT1_PS2_PKS1_21rocsparse_index_base_.has_dyn_sized_stack, 0
	.set _ZN9rocsparseL11gthr_kernelILj512EiaEEvT0_PKT1_PS2_PKS1_21rocsparse_index_base_.has_recursion, 0
	.set _ZN9rocsparseL11gthr_kernelILj512EiaEEvT0_PKT1_PS2_PKS1_21rocsparse_index_base_.has_indirect_call, 0
	.section	.AMDGPU.csdata,"",@progbits
; Kernel info:
; codeLenInByte = 156
; TotalNumSgprs: 11
; NumVgprs: 5
; ScratchSize: 0
; MemoryBound: 0
; FloatMode: 240
; IeeeMode: 1
; LDSByteSize: 0 bytes/workgroup (compile time only)
; SGPRBlocks: 1
; VGPRBlocks: 1
; NumSGPRsForWavesPerEU: 11
; NumVGPRsForWavesPerEU: 5
; Occupancy: 10
; WaveLimiterHint : 1
; COMPUTE_PGM_RSRC2:SCRATCH_EN: 0
; COMPUTE_PGM_RSRC2:USER_SGPR: 6
; COMPUTE_PGM_RSRC2:TRAP_HANDLER: 0
; COMPUTE_PGM_RSRC2:TGID_X_EN: 1
; COMPUTE_PGM_RSRC2:TGID_Y_EN: 0
; COMPUTE_PGM_RSRC2:TGID_Z_EN: 0
; COMPUTE_PGM_RSRC2:TIDIG_COMP_CNT: 0
	.section	.text._ZN9rocsparseL11gthr_kernelILj512EiiEEvT0_PKT1_PS2_PKS1_21rocsparse_index_base_,"axG",@progbits,_ZN9rocsparseL11gthr_kernelILj512EiiEEvT0_PKT1_PS2_PKS1_21rocsparse_index_base_,comdat
	.globl	_ZN9rocsparseL11gthr_kernelILj512EiiEEvT0_PKT1_PS2_PKS1_21rocsparse_index_base_ ; -- Begin function _ZN9rocsparseL11gthr_kernelILj512EiiEEvT0_PKT1_PS2_PKS1_21rocsparse_index_base_
	.p2align	8
	.type	_ZN9rocsparseL11gthr_kernelILj512EiiEEvT0_PKT1_PS2_PKS1_21rocsparse_index_base_,@function
_ZN9rocsparseL11gthr_kernelILj512EiiEEvT0_PKT1_PS2_PKS1_21rocsparse_index_base_: ; @_ZN9rocsparseL11gthr_kernelILj512EiiEEvT0_PKT1_PS2_PKS1_21rocsparse_index_base_
; %bb.0:
	s_load_dword s0, s[4:5], 0x0
	v_lshl_or_b32 v0, s6, 9, v0
	s_waitcnt lgkmcnt(0)
	v_cmp_gt_i32_e32 vcc, s0, v0
	s_and_saveexec_b64 s[0:1], vcc
	s_cbranch_execz .LBB3_2
; %bb.1:
	s_load_dwordx2 s[0:1], s[4:5], 0x18
	v_ashrrev_i32_e32 v1, 31, v0
	v_lshlrev_b64 v[0:1], 2, v[0:1]
	s_waitcnt lgkmcnt(0)
	v_mov_b32_e32 v3, s1
	v_add_co_u32_e32 v2, vcc, s0, v0
	v_addc_co_u32_e32 v3, vcc, v3, v1, vcc
	global_load_dword v2, v[2:3], off
	s_load_dwordx4 s[0:3], s[4:5], 0x8
	s_load_dword s6, s[4:5], 0x20
	s_waitcnt lgkmcnt(0)
	v_mov_b32_e32 v4, s1
	s_waitcnt vmcnt(0)
	v_subrev_u32_e32 v2, s6, v2
	v_ashrrev_i32_e32 v3, 31, v2
	v_lshlrev_b64 v[2:3], 2, v[2:3]
	v_add_co_u32_e32 v2, vcc, s0, v2
	v_addc_co_u32_e32 v3, vcc, v4, v3, vcc
	global_load_dword v2, v[2:3], off
	v_mov_b32_e32 v3, s3
	v_add_co_u32_e32 v0, vcc, s2, v0
	v_addc_co_u32_e32 v1, vcc, v3, v1, vcc
	s_waitcnt vmcnt(0)
	global_store_dword v[0:1], v2, off
.LBB3_2:
	s_endpgm
	.section	.rodata,"a",@progbits
	.p2align	6, 0x0
	.amdhsa_kernel _ZN9rocsparseL11gthr_kernelILj512EiiEEvT0_PKT1_PS2_PKS1_21rocsparse_index_base_
		.amdhsa_group_segment_fixed_size 0
		.amdhsa_private_segment_fixed_size 0
		.amdhsa_kernarg_size 36
		.amdhsa_user_sgpr_count 6
		.amdhsa_user_sgpr_private_segment_buffer 1
		.amdhsa_user_sgpr_dispatch_ptr 0
		.amdhsa_user_sgpr_queue_ptr 0
		.amdhsa_user_sgpr_kernarg_segment_ptr 1
		.amdhsa_user_sgpr_dispatch_id 0
		.amdhsa_user_sgpr_flat_scratch_init 0
		.amdhsa_user_sgpr_private_segment_size 0
		.amdhsa_uses_dynamic_stack 0
		.amdhsa_system_sgpr_private_segment_wavefront_offset 0
		.amdhsa_system_sgpr_workgroup_id_x 1
		.amdhsa_system_sgpr_workgroup_id_y 0
		.amdhsa_system_sgpr_workgroup_id_z 0
		.amdhsa_system_sgpr_workgroup_info 0
		.amdhsa_system_vgpr_workitem_id 0
		.amdhsa_next_free_vgpr 5
		.amdhsa_next_free_sgpr 7
		.amdhsa_reserve_vcc 1
		.amdhsa_reserve_flat_scratch 0
		.amdhsa_float_round_mode_32 0
		.amdhsa_float_round_mode_16_64 0
		.amdhsa_float_denorm_mode_32 3
		.amdhsa_float_denorm_mode_16_64 3
		.amdhsa_dx10_clamp 1
		.amdhsa_ieee_mode 1
		.amdhsa_fp16_overflow 0
		.amdhsa_exception_fp_ieee_invalid_op 0
		.amdhsa_exception_fp_denorm_src 0
		.amdhsa_exception_fp_ieee_div_zero 0
		.amdhsa_exception_fp_ieee_overflow 0
		.amdhsa_exception_fp_ieee_underflow 0
		.amdhsa_exception_fp_ieee_inexact 0
		.amdhsa_exception_int_div_zero 0
	.end_amdhsa_kernel
	.section	.text._ZN9rocsparseL11gthr_kernelILj512EiiEEvT0_PKT1_PS2_PKS1_21rocsparse_index_base_,"axG",@progbits,_ZN9rocsparseL11gthr_kernelILj512EiiEEvT0_PKT1_PS2_PKS1_21rocsparse_index_base_,comdat
.Lfunc_end3:
	.size	_ZN9rocsparseL11gthr_kernelILj512EiiEEvT0_PKT1_PS2_PKS1_21rocsparse_index_base_, .Lfunc_end3-_ZN9rocsparseL11gthr_kernelILj512EiiEEvT0_PKT1_PS2_PKS1_21rocsparse_index_base_
                                        ; -- End function
	.set _ZN9rocsparseL11gthr_kernelILj512EiiEEvT0_PKT1_PS2_PKS1_21rocsparse_index_base_.num_vgpr, 5
	.set _ZN9rocsparseL11gthr_kernelILj512EiiEEvT0_PKT1_PS2_PKS1_21rocsparse_index_base_.num_agpr, 0
	.set _ZN9rocsparseL11gthr_kernelILj512EiiEEvT0_PKT1_PS2_PKS1_21rocsparse_index_base_.numbered_sgpr, 7
	.set _ZN9rocsparseL11gthr_kernelILj512EiiEEvT0_PKT1_PS2_PKS1_21rocsparse_index_base_.num_named_barrier, 0
	.set _ZN9rocsparseL11gthr_kernelILj512EiiEEvT0_PKT1_PS2_PKS1_21rocsparse_index_base_.private_seg_size, 0
	.set _ZN9rocsparseL11gthr_kernelILj512EiiEEvT0_PKT1_PS2_PKS1_21rocsparse_index_base_.uses_vcc, 1
	.set _ZN9rocsparseL11gthr_kernelILj512EiiEEvT0_PKT1_PS2_PKS1_21rocsparse_index_base_.uses_flat_scratch, 0
	.set _ZN9rocsparseL11gthr_kernelILj512EiiEEvT0_PKT1_PS2_PKS1_21rocsparse_index_base_.has_dyn_sized_stack, 0
	.set _ZN9rocsparseL11gthr_kernelILj512EiiEEvT0_PKT1_PS2_PKS1_21rocsparse_index_base_.has_recursion, 0
	.set _ZN9rocsparseL11gthr_kernelILj512EiiEEvT0_PKT1_PS2_PKS1_21rocsparse_index_base_.has_indirect_call, 0
	.section	.AMDGPU.csdata,"",@progbits
; Kernel info:
; codeLenInByte = 164
; TotalNumSgprs: 11
; NumVgprs: 5
; ScratchSize: 0
; MemoryBound: 0
; FloatMode: 240
; IeeeMode: 1
; LDSByteSize: 0 bytes/workgroup (compile time only)
; SGPRBlocks: 1
; VGPRBlocks: 1
; NumSGPRsForWavesPerEU: 11
; NumVGPRsForWavesPerEU: 5
; Occupancy: 10
; WaveLimiterHint : 1
; COMPUTE_PGM_RSRC2:SCRATCH_EN: 0
; COMPUTE_PGM_RSRC2:USER_SGPR: 6
; COMPUTE_PGM_RSRC2:TRAP_HANDLER: 0
; COMPUTE_PGM_RSRC2:TGID_X_EN: 1
; COMPUTE_PGM_RSRC2:TGID_Y_EN: 0
; COMPUTE_PGM_RSRC2:TGID_Z_EN: 0
; COMPUTE_PGM_RSRC2:TIDIG_COMP_CNT: 0
	.section	.text._ZN9rocsparseL11gthr_kernelILj512EilEEvT0_PKT1_PS2_PKS1_21rocsparse_index_base_,"axG",@progbits,_ZN9rocsparseL11gthr_kernelILj512EilEEvT0_PKT1_PS2_PKS1_21rocsparse_index_base_,comdat
	.globl	_ZN9rocsparseL11gthr_kernelILj512EilEEvT0_PKT1_PS2_PKS1_21rocsparse_index_base_ ; -- Begin function _ZN9rocsparseL11gthr_kernelILj512EilEEvT0_PKT1_PS2_PKS1_21rocsparse_index_base_
	.p2align	8
	.type	_ZN9rocsparseL11gthr_kernelILj512EilEEvT0_PKT1_PS2_PKS1_21rocsparse_index_base_,@function
_ZN9rocsparseL11gthr_kernelILj512EilEEvT0_PKT1_PS2_PKS1_21rocsparse_index_base_: ; @_ZN9rocsparseL11gthr_kernelILj512EilEEvT0_PKT1_PS2_PKS1_21rocsparse_index_base_
; %bb.0:
	s_load_dword s0, s[4:5], 0x0
	v_lshl_or_b32 v0, s6, 9, v0
	s_waitcnt lgkmcnt(0)
	v_cmp_gt_i32_e32 vcc, s0, v0
	s_and_saveexec_b64 s[0:1], vcc
	s_cbranch_execz .LBB4_2
; %bb.1:
	s_load_dwordx2 s[0:1], s[4:5], 0x18
	v_ashrrev_i32_e32 v1, 31, v0
	v_lshlrev_b64 v[2:3], 2, v[0:1]
	v_lshlrev_b64 v[0:1], 3, v[0:1]
	s_waitcnt lgkmcnt(0)
	v_mov_b32_e32 v4, s1
	v_add_co_u32_e32 v2, vcc, s0, v2
	v_addc_co_u32_e32 v3, vcc, v4, v3, vcc
	global_load_dword v2, v[2:3], off
	s_load_dwordx4 s[0:3], s[4:5], 0x8
	s_load_dword s6, s[4:5], 0x20
	s_waitcnt lgkmcnt(0)
	v_mov_b32_e32 v4, s1
	s_waitcnt vmcnt(0)
	v_subrev_u32_e32 v2, s6, v2
	v_ashrrev_i32_e32 v3, 31, v2
	v_lshlrev_b64 v[2:3], 3, v[2:3]
	v_add_co_u32_e32 v2, vcc, s0, v2
	v_addc_co_u32_e32 v3, vcc, v4, v3, vcc
	global_load_dwordx2 v[2:3], v[2:3], off
	v_mov_b32_e32 v4, s3
	v_add_co_u32_e32 v0, vcc, s2, v0
	v_addc_co_u32_e32 v1, vcc, v4, v1, vcc
	s_waitcnt vmcnt(0)
	global_store_dwordx2 v[0:1], v[2:3], off
.LBB4_2:
	s_endpgm
	.section	.rodata,"a",@progbits
	.p2align	6, 0x0
	.amdhsa_kernel _ZN9rocsparseL11gthr_kernelILj512EilEEvT0_PKT1_PS2_PKS1_21rocsparse_index_base_
		.amdhsa_group_segment_fixed_size 0
		.amdhsa_private_segment_fixed_size 0
		.amdhsa_kernarg_size 36
		.amdhsa_user_sgpr_count 6
		.amdhsa_user_sgpr_private_segment_buffer 1
		.amdhsa_user_sgpr_dispatch_ptr 0
		.amdhsa_user_sgpr_queue_ptr 0
		.amdhsa_user_sgpr_kernarg_segment_ptr 1
		.amdhsa_user_sgpr_dispatch_id 0
		.amdhsa_user_sgpr_flat_scratch_init 0
		.amdhsa_user_sgpr_private_segment_size 0
		.amdhsa_uses_dynamic_stack 0
		.amdhsa_system_sgpr_private_segment_wavefront_offset 0
		.amdhsa_system_sgpr_workgroup_id_x 1
		.amdhsa_system_sgpr_workgroup_id_y 0
		.amdhsa_system_sgpr_workgroup_id_z 0
		.amdhsa_system_sgpr_workgroup_info 0
		.amdhsa_system_vgpr_workitem_id 0
		.amdhsa_next_free_vgpr 5
		.amdhsa_next_free_sgpr 7
		.amdhsa_reserve_vcc 1
		.amdhsa_reserve_flat_scratch 0
		.amdhsa_float_round_mode_32 0
		.amdhsa_float_round_mode_16_64 0
		.amdhsa_float_denorm_mode_32 3
		.amdhsa_float_denorm_mode_16_64 3
		.amdhsa_dx10_clamp 1
		.amdhsa_ieee_mode 1
		.amdhsa_fp16_overflow 0
		.amdhsa_exception_fp_ieee_invalid_op 0
		.amdhsa_exception_fp_denorm_src 0
		.amdhsa_exception_fp_ieee_div_zero 0
		.amdhsa_exception_fp_ieee_overflow 0
		.amdhsa_exception_fp_ieee_underflow 0
		.amdhsa_exception_fp_ieee_inexact 0
		.amdhsa_exception_int_div_zero 0
	.end_amdhsa_kernel
	.section	.text._ZN9rocsparseL11gthr_kernelILj512EilEEvT0_PKT1_PS2_PKS1_21rocsparse_index_base_,"axG",@progbits,_ZN9rocsparseL11gthr_kernelILj512EilEEvT0_PKT1_PS2_PKS1_21rocsparse_index_base_,comdat
.Lfunc_end4:
	.size	_ZN9rocsparseL11gthr_kernelILj512EilEEvT0_PKT1_PS2_PKS1_21rocsparse_index_base_, .Lfunc_end4-_ZN9rocsparseL11gthr_kernelILj512EilEEvT0_PKT1_PS2_PKS1_21rocsparse_index_base_
                                        ; -- End function
	.set _ZN9rocsparseL11gthr_kernelILj512EilEEvT0_PKT1_PS2_PKS1_21rocsparse_index_base_.num_vgpr, 5
	.set _ZN9rocsparseL11gthr_kernelILj512EilEEvT0_PKT1_PS2_PKS1_21rocsparse_index_base_.num_agpr, 0
	.set _ZN9rocsparseL11gthr_kernelILj512EilEEvT0_PKT1_PS2_PKS1_21rocsparse_index_base_.numbered_sgpr, 7
	.set _ZN9rocsparseL11gthr_kernelILj512EilEEvT0_PKT1_PS2_PKS1_21rocsparse_index_base_.num_named_barrier, 0
	.set _ZN9rocsparseL11gthr_kernelILj512EilEEvT0_PKT1_PS2_PKS1_21rocsparse_index_base_.private_seg_size, 0
	.set _ZN9rocsparseL11gthr_kernelILj512EilEEvT0_PKT1_PS2_PKS1_21rocsparse_index_base_.uses_vcc, 1
	.set _ZN9rocsparseL11gthr_kernelILj512EilEEvT0_PKT1_PS2_PKS1_21rocsparse_index_base_.uses_flat_scratch, 0
	.set _ZN9rocsparseL11gthr_kernelILj512EilEEvT0_PKT1_PS2_PKS1_21rocsparse_index_base_.has_dyn_sized_stack, 0
	.set _ZN9rocsparseL11gthr_kernelILj512EilEEvT0_PKT1_PS2_PKS1_21rocsparse_index_base_.has_recursion, 0
	.set _ZN9rocsparseL11gthr_kernelILj512EilEEvT0_PKT1_PS2_PKS1_21rocsparse_index_base_.has_indirect_call, 0
	.section	.AMDGPU.csdata,"",@progbits
; Kernel info:
; codeLenInByte = 172
; TotalNumSgprs: 11
; NumVgprs: 5
; ScratchSize: 0
; MemoryBound: 0
; FloatMode: 240
; IeeeMode: 1
; LDSByteSize: 0 bytes/workgroup (compile time only)
; SGPRBlocks: 1
; VGPRBlocks: 1
; NumSGPRsForWavesPerEU: 11
; NumVGPRsForWavesPerEU: 5
; Occupancy: 10
; WaveLimiterHint : 1
; COMPUTE_PGM_RSRC2:SCRATCH_EN: 0
; COMPUTE_PGM_RSRC2:USER_SGPR: 6
; COMPUTE_PGM_RSRC2:TRAP_HANDLER: 0
; COMPUTE_PGM_RSRC2:TGID_X_EN: 1
; COMPUTE_PGM_RSRC2:TGID_Y_EN: 0
; COMPUTE_PGM_RSRC2:TGID_Z_EN: 0
; COMPUTE_PGM_RSRC2:TIDIG_COMP_CNT: 0
	.section	.text._ZN9rocsparseL11gthr_kernelILj512EiDF16_EEvT0_PKT1_PS2_PKS1_21rocsparse_index_base_,"axG",@progbits,_ZN9rocsparseL11gthr_kernelILj512EiDF16_EEvT0_PKT1_PS2_PKS1_21rocsparse_index_base_,comdat
	.globl	_ZN9rocsparseL11gthr_kernelILj512EiDF16_EEvT0_PKT1_PS2_PKS1_21rocsparse_index_base_ ; -- Begin function _ZN9rocsparseL11gthr_kernelILj512EiDF16_EEvT0_PKT1_PS2_PKS1_21rocsparse_index_base_
	.p2align	8
	.type	_ZN9rocsparseL11gthr_kernelILj512EiDF16_EEvT0_PKT1_PS2_PKS1_21rocsparse_index_base_,@function
_ZN9rocsparseL11gthr_kernelILj512EiDF16_EEvT0_PKT1_PS2_PKS1_21rocsparse_index_base_: ; @_ZN9rocsparseL11gthr_kernelILj512EiDF16_EEvT0_PKT1_PS2_PKS1_21rocsparse_index_base_
; %bb.0:
	s_load_dword s0, s[4:5], 0x0
	v_lshl_or_b32 v0, s6, 9, v0
	s_waitcnt lgkmcnt(0)
	v_cmp_gt_i32_e32 vcc, s0, v0
	s_and_saveexec_b64 s[0:1], vcc
	s_cbranch_execz .LBB5_2
; %bb.1:
	s_load_dwordx2 s[0:1], s[4:5], 0x18
	v_ashrrev_i32_e32 v1, 31, v0
	v_lshlrev_b64 v[2:3], 2, v[0:1]
	v_lshlrev_b64 v[0:1], 1, v[0:1]
	s_waitcnt lgkmcnt(0)
	v_mov_b32_e32 v4, s1
	v_add_co_u32_e32 v2, vcc, s0, v2
	v_addc_co_u32_e32 v3, vcc, v4, v3, vcc
	global_load_dword v2, v[2:3], off
	s_load_dwordx4 s[0:3], s[4:5], 0x8
	s_load_dword s6, s[4:5], 0x20
	s_waitcnt lgkmcnt(0)
	v_mov_b32_e32 v4, s1
	s_waitcnt vmcnt(0)
	v_subrev_u32_e32 v2, s6, v2
	v_ashrrev_i32_e32 v3, 31, v2
	v_lshlrev_b64 v[2:3], 1, v[2:3]
	v_add_co_u32_e32 v2, vcc, s0, v2
	v_addc_co_u32_e32 v3, vcc, v4, v3, vcc
	global_load_ushort v2, v[2:3], off
	v_mov_b32_e32 v3, s3
	v_add_co_u32_e32 v0, vcc, s2, v0
	v_addc_co_u32_e32 v1, vcc, v3, v1, vcc
	s_waitcnt vmcnt(0)
	global_store_short v[0:1], v2, off
.LBB5_2:
	s_endpgm
	.section	.rodata,"a",@progbits
	.p2align	6, 0x0
	.amdhsa_kernel _ZN9rocsparseL11gthr_kernelILj512EiDF16_EEvT0_PKT1_PS2_PKS1_21rocsparse_index_base_
		.amdhsa_group_segment_fixed_size 0
		.amdhsa_private_segment_fixed_size 0
		.amdhsa_kernarg_size 36
		.amdhsa_user_sgpr_count 6
		.amdhsa_user_sgpr_private_segment_buffer 1
		.amdhsa_user_sgpr_dispatch_ptr 0
		.amdhsa_user_sgpr_queue_ptr 0
		.amdhsa_user_sgpr_kernarg_segment_ptr 1
		.amdhsa_user_sgpr_dispatch_id 0
		.amdhsa_user_sgpr_flat_scratch_init 0
		.amdhsa_user_sgpr_private_segment_size 0
		.amdhsa_uses_dynamic_stack 0
		.amdhsa_system_sgpr_private_segment_wavefront_offset 0
		.amdhsa_system_sgpr_workgroup_id_x 1
		.amdhsa_system_sgpr_workgroup_id_y 0
		.amdhsa_system_sgpr_workgroup_id_z 0
		.amdhsa_system_sgpr_workgroup_info 0
		.amdhsa_system_vgpr_workitem_id 0
		.amdhsa_next_free_vgpr 5
		.amdhsa_next_free_sgpr 7
		.amdhsa_reserve_vcc 1
		.amdhsa_reserve_flat_scratch 0
		.amdhsa_float_round_mode_32 0
		.amdhsa_float_round_mode_16_64 0
		.amdhsa_float_denorm_mode_32 3
		.amdhsa_float_denorm_mode_16_64 3
		.amdhsa_dx10_clamp 1
		.amdhsa_ieee_mode 1
		.amdhsa_fp16_overflow 0
		.amdhsa_exception_fp_ieee_invalid_op 0
		.amdhsa_exception_fp_denorm_src 0
		.amdhsa_exception_fp_ieee_div_zero 0
		.amdhsa_exception_fp_ieee_overflow 0
		.amdhsa_exception_fp_ieee_underflow 0
		.amdhsa_exception_fp_ieee_inexact 0
		.amdhsa_exception_int_div_zero 0
	.end_amdhsa_kernel
	.section	.text._ZN9rocsparseL11gthr_kernelILj512EiDF16_EEvT0_PKT1_PS2_PKS1_21rocsparse_index_base_,"axG",@progbits,_ZN9rocsparseL11gthr_kernelILj512EiDF16_EEvT0_PKT1_PS2_PKS1_21rocsparse_index_base_,comdat
.Lfunc_end5:
	.size	_ZN9rocsparseL11gthr_kernelILj512EiDF16_EEvT0_PKT1_PS2_PKS1_21rocsparse_index_base_, .Lfunc_end5-_ZN9rocsparseL11gthr_kernelILj512EiDF16_EEvT0_PKT1_PS2_PKS1_21rocsparse_index_base_
                                        ; -- End function
	.set _ZN9rocsparseL11gthr_kernelILj512EiDF16_EEvT0_PKT1_PS2_PKS1_21rocsparse_index_base_.num_vgpr, 5
	.set _ZN9rocsparseL11gthr_kernelILj512EiDF16_EEvT0_PKT1_PS2_PKS1_21rocsparse_index_base_.num_agpr, 0
	.set _ZN9rocsparseL11gthr_kernelILj512EiDF16_EEvT0_PKT1_PS2_PKS1_21rocsparse_index_base_.numbered_sgpr, 7
	.set _ZN9rocsparseL11gthr_kernelILj512EiDF16_EEvT0_PKT1_PS2_PKS1_21rocsparse_index_base_.num_named_barrier, 0
	.set _ZN9rocsparseL11gthr_kernelILj512EiDF16_EEvT0_PKT1_PS2_PKS1_21rocsparse_index_base_.private_seg_size, 0
	.set _ZN9rocsparseL11gthr_kernelILj512EiDF16_EEvT0_PKT1_PS2_PKS1_21rocsparse_index_base_.uses_vcc, 1
	.set _ZN9rocsparseL11gthr_kernelILj512EiDF16_EEvT0_PKT1_PS2_PKS1_21rocsparse_index_base_.uses_flat_scratch, 0
	.set _ZN9rocsparseL11gthr_kernelILj512EiDF16_EEvT0_PKT1_PS2_PKS1_21rocsparse_index_base_.has_dyn_sized_stack, 0
	.set _ZN9rocsparseL11gthr_kernelILj512EiDF16_EEvT0_PKT1_PS2_PKS1_21rocsparse_index_base_.has_recursion, 0
	.set _ZN9rocsparseL11gthr_kernelILj512EiDF16_EEvT0_PKT1_PS2_PKS1_21rocsparse_index_base_.has_indirect_call, 0
	.section	.AMDGPU.csdata,"",@progbits
; Kernel info:
; codeLenInByte = 172
; TotalNumSgprs: 11
; NumVgprs: 5
; ScratchSize: 0
; MemoryBound: 0
; FloatMode: 240
; IeeeMode: 1
; LDSByteSize: 0 bytes/workgroup (compile time only)
; SGPRBlocks: 1
; VGPRBlocks: 1
; NumSGPRsForWavesPerEU: 11
; NumVGPRsForWavesPerEU: 5
; Occupancy: 10
; WaveLimiterHint : 1
; COMPUTE_PGM_RSRC2:SCRATCH_EN: 0
; COMPUTE_PGM_RSRC2:USER_SGPR: 6
; COMPUTE_PGM_RSRC2:TRAP_HANDLER: 0
; COMPUTE_PGM_RSRC2:TGID_X_EN: 1
; COMPUTE_PGM_RSRC2:TGID_Y_EN: 0
; COMPUTE_PGM_RSRC2:TGID_Z_EN: 0
; COMPUTE_PGM_RSRC2:TIDIG_COMP_CNT: 0
	.section	.text._ZN9rocsparseL11gthr_kernelILj512Ei18rocsparse_bfloat16EEvT0_PKT1_PS3_PKS2_21rocsparse_index_base_,"axG",@progbits,_ZN9rocsparseL11gthr_kernelILj512Ei18rocsparse_bfloat16EEvT0_PKT1_PS3_PKS2_21rocsparse_index_base_,comdat
	.globl	_ZN9rocsparseL11gthr_kernelILj512Ei18rocsparse_bfloat16EEvT0_PKT1_PS3_PKS2_21rocsparse_index_base_ ; -- Begin function _ZN9rocsparseL11gthr_kernelILj512Ei18rocsparse_bfloat16EEvT0_PKT1_PS3_PKS2_21rocsparse_index_base_
	.p2align	8
	.type	_ZN9rocsparseL11gthr_kernelILj512Ei18rocsparse_bfloat16EEvT0_PKT1_PS3_PKS2_21rocsparse_index_base_,@function
_ZN9rocsparseL11gthr_kernelILj512Ei18rocsparse_bfloat16EEvT0_PKT1_PS3_PKS2_21rocsparse_index_base_: ; @_ZN9rocsparseL11gthr_kernelILj512Ei18rocsparse_bfloat16EEvT0_PKT1_PS3_PKS2_21rocsparse_index_base_
; %bb.0:
	s_load_dword s0, s[4:5], 0x0
	v_lshl_or_b32 v0, s6, 9, v0
	s_waitcnt lgkmcnt(0)
	v_cmp_gt_i32_e32 vcc, s0, v0
	s_and_saveexec_b64 s[0:1], vcc
	s_cbranch_execz .LBB6_2
; %bb.1:
	s_load_dwordx2 s[0:1], s[4:5], 0x18
	v_ashrrev_i32_e32 v1, 31, v0
	v_lshlrev_b64 v[2:3], 2, v[0:1]
	v_lshlrev_b64 v[0:1], 1, v[0:1]
	s_waitcnt lgkmcnt(0)
	v_mov_b32_e32 v4, s1
	v_add_co_u32_e32 v2, vcc, s0, v2
	v_addc_co_u32_e32 v3, vcc, v4, v3, vcc
	global_load_dword v2, v[2:3], off
	s_load_dwordx4 s[0:3], s[4:5], 0x8
	s_load_dword s6, s[4:5], 0x20
	s_waitcnt lgkmcnt(0)
	v_mov_b32_e32 v4, s1
	s_waitcnt vmcnt(0)
	v_subrev_u32_e32 v2, s6, v2
	v_ashrrev_i32_e32 v3, 31, v2
	v_lshlrev_b64 v[2:3], 1, v[2:3]
	v_add_co_u32_e32 v2, vcc, s0, v2
	v_addc_co_u32_e32 v3, vcc, v4, v3, vcc
	global_load_ushort v2, v[2:3], off
	v_mov_b32_e32 v3, s3
	v_add_co_u32_e32 v0, vcc, s2, v0
	v_addc_co_u32_e32 v1, vcc, v3, v1, vcc
	s_waitcnt vmcnt(0)
	global_store_short v[0:1], v2, off
.LBB6_2:
	s_endpgm
	.section	.rodata,"a",@progbits
	.p2align	6, 0x0
	.amdhsa_kernel _ZN9rocsparseL11gthr_kernelILj512Ei18rocsparse_bfloat16EEvT0_PKT1_PS3_PKS2_21rocsparse_index_base_
		.amdhsa_group_segment_fixed_size 0
		.amdhsa_private_segment_fixed_size 0
		.amdhsa_kernarg_size 36
		.amdhsa_user_sgpr_count 6
		.amdhsa_user_sgpr_private_segment_buffer 1
		.amdhsa_user_sgpr_dispatch_ptr 0
		.amdhsa_user_sgpr_queue_ptr 0
		.amdhsa_user_sgpr_kernarg_segment_ptr 1
		.amdhsa_user_sgpr_dispatch_id 0
		.amdhsa_user_sgpr_flat_scratch_init 0
		.amdhsa_user_sgpr_private_segment_size 0
		.amdhsa_uses_dynamic_stack 0
		.amdhsa_system_sgpr_private_segment_wavefront_offset 0
		.amdhsa_system_sgpr_workgroup_id_x 1
		.amdhsa_system_sgpr_workgroup_id_y 0
		.amdhsa_system_sgpr_workgroup_id_z 0
		.amdhsa_system_sgpr_workgroup_info 0
		.amdhsa_system_vgpr_workitem_id 0
		.amdhsa_next_free_vgpr 5
		.amdhsa_next_free_sgpr 7
		.amdhsa_reserve_vcc 1
		.amdhsa_reserve_flat_scratch 0
		.amdhsa_float_round_mode_32 0
		.amdhsa_float_round_mode_16_64 0
		.amdhsa_float_denorm_mode_32 3
		.amdhsa_float_denorm_mode_16_64 3
		.amdhsa_dx10_clamp 1
		.amdhsa_ieee_mode 1
		.amdhsa_fp16_overflow 0
		.amdhsa_exception_fp_ieee_invalid_op 0
		.amdhsa_exception_fp_denorm_src 0
		.amdhsa_exception_fp_ieee_div_zero 0
		.amdhsa_exception_fp_ieee_overflow 0
		.amdhsa_exception_fp_ieee_underflow 0
		.amdhsa_exception_fp_ieee_inexact 0
		.amdhsa_exception_int_div_zero 0
	.end_amdhsa_kernel
	.section	.text._ZN9rocsparseL11gthr_kernelILj512Ei18rocsparse_bfloat16EEvT0_PKT1_PS3_PKS2_21rocsparse_index_base_,"axG",@progbits,_ZN9rocsparseL11gthr_kernelILj512Ei18rocsparse_bfloat16EEvT0_PKT1_PS3_PKS2_21rocsparse_index_base_,comdat
.Lfunc_end6:
	.size	_ZN9rocsparseL11gthr_kernelILj512Ei18rocsparse_bfloat16EEvT0_PKT1_PS3_PKS2_21rocsparse_index_base_, .Lfunc_end6-_ZN9rocsparseL11gthr_kernelILj512Ei18rocsparse_bfloat16EEvT0_PKT1_PS3_PKS2_21rocsparse_index_base_
                                        ; -- End function
	.set _ZN9rocsparseL11gthr_kernelILj512Ei18rocsparse_bfloat16EEvT0_PKT1_PS3_PKS2_21rocsparse_index_base_.num_vgpr, 5
	.set _ZN9rocsparseL11gthr_kernelILj512Ei18rocsparse_bfloat16EEvT0_PKT1_PS3_PKS2_21rocsparse_index_base_.num_agpr, 0
	.set _ZN9rocsparseL11gthr_kernelILj512Ei18rocsparse_bfloat16EEvT0_PKT1_PS3_PKS2_21rocsparse_index_base_.numbered_sgpr, 7
	.set _ZN9rocsparseL11gthr_kernelILj512Ei18rocsparse_bfloat16EEvT0_PKT1_PS3_PKS2_21rocsparse_index_base_.num_named_barrier, 0
	.set _ZN9rocsparseL11gthr_kernelILj512Ei18rocsparse_bfloat16EEvT0_PKT1_PS3_PKS2_21rocsparse_index_base_.private_seg_size, 0
	.set _ZN9rocsparseL11gthr_kernelILj512Ei18rocsparse_bfloat16EEvT0_PKT1_PS3_PKS2_21rocsparse_index_base_.uses_vcc, 1
	.set _ZN9rocsparseL11gthr_kernelILj512Ei18rocsparse_bfloat16EEvT0_PKT1_PS3_PKS2_21rocsparse_index_base_.uses_flat_scratch, 0
	.set _ZN9rocsparseL11gthr_kernelILj512Ei18rocsparse_bfloat16EEvT0_PKT1_PS3_PKS2_21rocsparse_index_base_.has_dyn_sized_stack, 0
	.set _ZN9rocsparseL11gthr_kernelILj512Ei18rocsparse_bfloat16EEvT0_PKT1_PS3_PKS2_21rocsparse_index_base_.has_recursion, 0
	.set _ZN9rocsparseL11gthr_kernelILj512Ei18rocsparse_bfloat16EEvT0_PKT1_PS3_PKS2_21rocsparse_index_base_.has_indirect_call, 0
	.section	.AMDGPU.csdata,"",@progbits
; Kernel info:
; codeLenInByte = 172
; TotalNumSgprs: 11
; NumVgprs: 5
; ScratchSize: 0
; MemoryBound: 0
; FloatMode: 240
; IeeeMode: 1
; LDSByteSize: 0 bytes/workgroup (compile time only)
; SGPRBlocks: 1
; VGPRBlocks: 1
; NumSGPRsForWavesPerEU: 11
; NumVGPRsForWavesPerEU: 5
; Occupancy: 10
; WaveLimiterHint : 1
; COMPUTE_PGM_RSRC2:SCRATCH_EN: 0
; COMPUTE_PGM_RSRC2:USER_SGPR: 6
; COMPUTE_PGM_RSRC2:TRAP_HANDLER: 0
; COMPUTE_PGM_RSRC2:TGID_X_EN: 1
; COMPUTE_PGM_RSRC2:TGID_Y_EN: 0
; COMPUTE_PGM_RSRC2:TGID_Z_EN: 0
; COMPUTE_PGM_RSRC2:TIDIG_COMP_CNT: 0
	.section	.text._ZN9rocsparseL11gthr_kernelILj512EifEEvT0_PKT1_PS2_PKS1_21rocsparse_index_base_,"axG",@progbits,_ZN9rocsparseL11gthr_kernelILj512EifEEvT0_PKT1_PS2_PKS1_21rocsparse_index_base_,comdat
	.globl	_ZN9rocsparseL11gthr_kernelILj512EifEEvT0_PKT1_PS2_PKS1_21rocsparse_index_base_ ; -- Begin function _ZN9rocsparseL11gthr_kernelILj512EifEEvT0_PKT1_PS2_PKS1_21rocsparse_index_base_
	.p2align	8
	.type	_ZN9rocsparseL11gthr_kernelILj512EifEEvT0_PKT1_PS2_PKS1_21rocsparse_index_base_,@function
_ZN9rocsparseL11gthr_kernelILj512EifEEvT0_PKT1_PS2_PKS1_21rocsparse_index_base_: ; @_ZN9rocsparseL11gthr_kernelILj512EifEEvT0_PKT1_PS2_PKS1_21rocsparse_index_base_
; %bb.0:
	s_load_dword s0, s[4:5], 0x0
	v_lshl_or_b32 v0, s6, 9, v0
	s_waitcnt lgkmcnt(0)
	v_cmp_gt_i32_e32 vcc, s0, v0
	s_and_saveexec_b64 s[0:1], vcc
	s_cbranch_execz .LBB7_2
; %bb.1:
	s_load_dwordx2 s[0:1], s[4:5], 0x18
	v_ashrrev_i32_e32 v1, 31, v0
	v_lshlrev_b64 v[0:1], 2, v[0:1]
	s_waitcnt lgkmcnt(0)
	v_mov_b32_e32 v3, s1
	v_add_co_u32_e32 v2, vcc, s0, v0
	v_addc_co_u32_e32 v3, vcc, v3, v1, vcc
	global_load_dword v2, v[2:3], off
	s_load_dwordx4 s[0:3], s[4:5], 0x8
	s_load_dword s6, s[4:5], 0x20
	s_waitcnt lgkmcnt(0)
	v_mov_b32_e32 v4, s1
	s_waitcnt vmcnt(0)
	v_subrev_u32_e32 v2, s6, v2
	v_ashrrev_i32_e32 v3, 31, v2
	v_lshlrev_b64 v[2:3], 2, v[2:3]
	v_add_co_u32_e32 v2, vcc, s0, v2
	v_addc_co_u32_e32 v3, vcc, v4, v3, vcc
	global_load_dword v2, v[2:3], off
	v_mov_b32_e32 v3, s3
	v_add_co_u32_e32 v0, vcc, s2, v0
	v_addc_co_u32_e32 v1, vcc, v3, v1, vcc
	s_waitcnt vmcnt(0)
	global_store_dword v[0:1], v2, off
.LBB7_2:
	s_endpgm
	.section	.rodata,"a",@progbits
	.p2align	6, 0x0
	.amdhsa_kernel _ZN9rocsparseL11gthr_kernelILj512EifEEvT0_PKT1_PS2_PKS1_21rocsparse_index_base_
		.amdhsa_group_segment_fixed_size 0
		.amdhsa_private_segment_fixed_size 0
		.amdhsa_kernarg_size 36
		.amdhsa_user_sgpr_count 6
		.amdhsa_user_sgpr_private_segment_buffer 1
		.amdhsa_user_sgpr_dispatch_ptr 0
		.amdhsa_user_sgpr_queue_ptr 0
		.amdhsa_user_sgpr_kernarg_segment_ptr 1
		.amdhsa_user_sgpr_dispatch_id 0
		.amdhsa_user_sgpr_flat_scratch_init 0
		.amdhsa_user_sgpr_private_segment_size 0
		.amdhsa_uses_dynamic_stack 0
		.amdhsa_system_sgpr_private_segment_wavefront_offset 0
		.amdhsa_system_sgpr_workgroup_id_x 1
		.amdhsa_system_sgpr_workgroup_id_y 0
		.amdhsa_system_sgpr_workgroup_id_z 0
		.amdhsa_system_sgpr_workgroup_info 0
		.amdhsa_system_vgpr_workitem_id 0
		.amdhsa_next_free_vgpr 5
		.amdhsa_next_free_sgpr 7
		.amdhsa_reserve_vcc 1
		.amdhsa_reserve_flat_scratch 0
		.amdhsa_float_round_mode_32 0
		.amdhsa_float_round_mode_16_64 0
		.amdhsa_float_denorm_mode_32 3
		.amdhsa_float_denorm_mode_16_64 3
		.amdhsa_dx10_clamp 1
		.amdhsa_ieee_mode 1
		.amdhsa_fp16_overflow 0
		.amdhsa_exception_fp_ieee_invalid_op 0
		.amdhsa_exception_fp_denorm_src 0
		.amdhsa_exception_fp_ieee_div_zero 0
		.amdhsa_exception_fp_ieee_overflow 0
		.amdhsa_exception_fp_ieee_underflow 0
		.amdhsa_exception_fp_ieee_inexact 0
		.amdhsa_exception_int_div_zero 0
	.end_amdhsa_kernel
	.section	.text._ZN9rocsparseL11gthr_kernelILj512EifEEvT0_PKT1_PS2_PKS1_21rocsparse_index_base_,"axG",@progbits,_ZN9rocsparseL11gthr_kernelILj512EifEEvT0_PKT1_PS2_PKS1_21rocsparse_index_base_,comdat
.Lfunc_end7:
	.size	_ZN9rocsparseL11gthr_kernelILj512EifEEvT0_PKT1_PS2_PKS1_21rocsparse_index_base_, .Lfunc_end7-_ZN9rocsparseL11gthr_kernelILj512EifEEvT0_PKT1_PS2_PKS1_21rocsparse_index_base_
                                        ; -- End function
	.set _ZN9rocsparseL11gthr_kernelILj512EifEEvT0_PKT1_PS2_PKS1_21rocsparse_index_base_.num_vgpr, 5
	.set _ZN9rocsparseL11gthr_kernelILj512EifEEvT0_PKT1_PS2_PKS1_21rocsparse_index_base_.num_agpr, 0
	.set _ZN9rocsparseL11gthr_kernelILj512EifEEvT0_PKT1_PS2_PKS1_21rocsparse_index_base_.numbered_sgpr, 7
	.set _ZN9rocsparseL11gthr_kernelILj512EifEEvT0_PKT1_PS2_PKS1_21rocsparse_index_base_.num_named_barrier, 0
	.set _ZN9rocsparseL11gthr_kernelILj512EifEEvT0_PKT1_PS2_PKS1_21rocsparse_index_base_.private_seg_size, 0
	.set _ZN9rocsparseL11gthr_kernelILj512EifEEvT0_PKT1_PS2_PKS1_21rocsparse_index_base_.uses_vcc, 1
	.set _ZN9rocsparseL11gthr_kernelILj512EifEEvT0_PKT1_PS2_PKS1_21rocsparse_index_base_.uses_flat_scratch, 0
	.set _ZN9rocsparseL11gthr_kernelILj512EifEEvT0_PKT1_PS2_PKS1_21rocsparse_index_base_.has_dyn_sized_stack, 0
	.set _ZN9rocsparseL11gthr_kernelILj512EifEEvT0_PKT1_PS2_PKS1_21rocsparse_index_base_.has_recursion, 0
	.set _ZN9rocsparseL11gthr_kernelILj512EifEEvT0_PKT1_PS2_PKS1_21rocsparse_index_base_.has_indirect_call, 0
	.section	.AMDGPU.csdata,"",@progbits
; Kernel info:
; codeLenInByte = 164
; TotalNumSgprs: 11
; NumVgprs: 5
; ScratchSize: 0
; MemoryBound: 0
; FloatMode: 240
; IeeeMode: 1
; LDSByteSize: 0 bytes/workgroup (compile time only)
; SGPRBlocks: 1
; VGPRBlocks: 1
; NumSGPRsForWavesPerEU: 11
; NumVGPRsForWavesPerEU: 5
; Occupancy: 10
; WaveLimiterHint : 1
; COMPUTE_PGM_RSRC2:SCRATCH_EN: 0
; COMPUTE_PGM_RSRC2:USER_SGPR: 6
; COMPUTE_PGM_RSRC2:TRAP_HANDLER: 0
; COMPUTE_PGM_RSRC2:TGID_X_EN: 1
; COMPUTE_PGM_RSRC2:TGID_Y_EN: 0
; COMPUTE_PGM_RSRC2:TGID_Z_EN: 0
; COMPUTE_PGM_RSRC2:TIDIG_COMP_CNT: 0
	.section	.text._ZN9rocsparseL11gthr_kernelILj512EidEEvT0_PKT1_PS2_PKS1_21rocsparse_index_base_,"axG",@progbits,_ZN9rocsparseL11gthr_kernelILj512EidEEvT0_PKT1_PS2_PKS1_21rocsparse_index_base_,comdat
	.globl	_ZN9rocsparseL11gthr_kernelILj512EidEEvT0_PKT1_PS2_PKS1_21rocsparse_index_base_ ; -- Begin function _ZN9rocsparseL11gthr_kernelILj512EidEEvT0_PKT1_PS2_PKS1_21rocsparse_index_base_
	.p2align	8
	.type	_ZN9rocsparseL11gthr_kernelILj512EidEEvT0_PKT1_PS2_PKS1_21rocsparse_index_base_,@function
_ZN9rocsparseL11gthr_kernelILj512EidEEvT0_PKT1_PS2_PKS1_21rocsparse_index_base_: ; @_ZN9rocsparseL11gthr_kernelILj512EidEEvT0_PKT1_PS2_PKS1_21rocsparse_index_base_
; %bb.0:
	s_load_dword s0, s[4:5], 0x0
	v_lshl_or_b32 v0, s6, 9, v0
	s_waitcnt lgkmcnt(0)
	v_cmp_gt_i32_e32 vcc, s0, v0
	s_and_saveexec_b64 s[0:1], vcc
	s_cbranch_execz .LBB8_2
; %bb.1:
	s_load_dwordx2 s[0:1], s[4:5], 0x18
	v_ashrrev_i32_e32 v1, 31, v0
	v_lshlrev_b64 v[2:3], 2, v[0:1]
	v_lshlrev_b64 v[0:1], 3, v[0:1]
	s_waitcnt lgkmcnt(0)
	v_mov_b32_e32 v4, s1
	v_add_co_u32_e32 v2, vcc, s0, v2
	v_addc_co_u32_e32 v3, vcc, v4, v3, vcc
	global_load_dword v2, v[2:3], off
	s_load_dwordx4 s[0:3], s[4:5], 0x8
	s_load_dword s6, s[4:5], 0x20
	s_waitcnt lgkmcnt(0)
	v_mov_b32_e32 v4, s1
	s_waitcnt vmcnt(0)
	v_subrev_u32_e32 v2, s6, v2
	v_ashrrev_i32_e32 v3, 31, v2
	v_lshlrev_b64 v[2:3], 3, v[2:3]
	v_add_co_u32_e32 v2, vcc, s0, v2
	v_addc_co_u32_e32 v3, vcc, v4, v3, vcc
	global_load_dwordx2 v[2:3], v[2:3], off
	v_mov_b32_e32 v4, s3
	v_add_co_u32_e32 v0, vcc, s2, v0
	v_addc_co_u32_e32 v1, vcc, v4, v1, vcc
	s_waitcnt vmcnt(0)
	global_store_dwordx2 v[0:1], v[2:3], off
.LBB8_2:
	s_endpgm
	.section	.rodata,"a",@progbits
	.p2align	6, 0x0
	.amdhsa_kernel _ZN9rocsparseL11gthr_kernelILj512EidEEvT0_PKT1_PS2_PKS1_21rocsparse_index_base_
		.amdhsa_group_segment_fixed_size 0
		.amdhsa_private_segment_fixed_size 0
		.amdhsa_kernarg_size 36
		.amdhsa_user_sgpr_count 6
		.amdhsa_user_sgpr_private_segment_buffer 1
		.amdhsa_user_sgpr_dispatch_ptr 0
		.amdhsa_user_sgpr_queue_ptr 0
		.amdhsa_user_sgpr_kernarg_segment_ptr 1
		.amdhsa_user_sgpr_dispatch_id 0
		.amdhsa_user_sgpr_flat_scratch_init 0
		.amdhsa_user_sgpr_private_segment_size 0
		.amdhsa_uses_dynamic_stack 0
		.amdhsa_system_sgpr_private_segment_wavefront_offset 0
		.amdhsa_system_sgpr_workgroup_id_x 1
		.amdhsa_system_sgpr_workgroup_id_y 0
		.amdhsa_system_sgpr_workgroup_id_z 0
		.amdhsa_system_sgpr_workgroup_info 0
		.amdhsa_system_vgpr_workitem_id 0
		.amdhsa_next_free_vgpr 5
		.amdhsa_next_free_sgpr 7
		.amdhsa_reserve_vcc 1
		.amdhsa_reserve_flat_scratch 0
		.amdhsa_float_round_mode_32 0
		.amdhsa_float_round_mode_16_64 0
		.amdhsa_float_denorm_mode_32 3
		.amdhsa_float_denorm_mode_16_64 3
		.amdhsa_dx10_clamp 1
		.amdhsa_ieee_mode 1
		.amdhsa_fp16_overflow 0
		.amdhsa_exception_fp_ieee_invalid_op 0
		.amdhsa_exception_fp_denorm_src 0
		.amdhsa_exception_fp_ieee_div_zero 0
		.amdhsa_exception_fp_ieee_overflow 0
		.amdhsa_exception_fp_ieee_underflow 0
		.amdhsa_exception_fp_ieee_inexact 0
		.amdhsa_exception_int_div_zero 0
	.end_amdhsa_kernel
	.section	.text._ZN9rocsparseL11gthr_kernelILj512EidEEvT0_PKT1_PS2_PKS1_21rocsparse_index_base_,"axG",@progbits,_ZN9rocsparseL11gthr_kernelILj512EidEEvT0_PKT1_PS2_PKS1_21rocsparse_index_base_,comdat
.Lfunc_end8:
	.size	_ZN9rocsparseL11gthr_kernelILj512EidEEvT0_PKT1_PS2_PKS1_21rocsparse_index_base_, .Lfunc_end8-_ZN9rocsparseL11gthr_kernelILj512EidEEvT0_PKT1_PS2_PKS1_21rocsparse_index_base_
                                        ; -- End function
	.set _ZN9rocsparseL11gthr_kernelILj512EidEEvT0_PKT1_PS2_PKS1_21rocsparse_index_base_.num_vgpr, 5
	.set _ZN9rocsparseL11gthr_kernelILj512EidEEvT0_PKT1_PS2_PKS1_21rocsparse_index_base_.num_agpr, 0
	.set _ZN9rocsparseL11gthr_kernelILj512EidEEvT0_PKT1_PS2_PKS1_21rocsparse_index_base_.numbered_sgpr, 7
	.set _ZN9rocsparseL11gthr_kernelILj512EidEEvT0_PKT1_PS2_PKS1_21rocsparse_index_base_.num_named_barrier, 0
	.set _ZN9rocsparseL11gthr_kernelILj512EidEEvT0_PKT1_PS2_PKS1_21rocsparse_index_base_.private_seg_size, 0
	.set _ZN9rocsparseL11gthr_kernelILj512EidEEvT0_PKT1_PS2_PKS1_21rocsparse_index_base_.uses_vcc, 1
	.set _ZN9rocsparseL11gthr_kernelILj512EidEEvT0_PKT1_PS2_PKS1_21rocsparse_index_base_.uses_flat_scratch, 0
	.set _ZN9rocsparseL11gthr_kernelILj512EidEEvT0_PKT1_PS2_PKS1_21rocsparse_index_base_.has_dyn_sized_stack, 0
	.set _ZN9rocsparseL11gthr_kernelILj512EidEEvT0_PKT1_PS2_PKS1_21rocsparse_index_base_.has_recursion, 0
	.set _ZN9rocsparseL11gthr_kernelILj512EidEEvT0_PKT1_PS2_PKS1_21rocsparse_index_base_.has_indirect_call, 0
	.section	.AMDGPU.csdata,"",@progbits
; Kernel info:
; codeLenInByte = 172
; TotalNumSgprs: 11
; NumVgprs: 5
; ScratchSize: 0
; MemoryBound: 0
; FloatMode: 240
; IeeeMode: 1
; LDSByteSize: 0 bytes/workgroup (compile time only)
; SGPRBlocks: 1
; VGPRBlocks: 1
; NumSGPRsForWavesPerEU: 11
; NumVGPRsForWavesPerEU: 5
; Occupancy: 10
; WaveLimiterHint : 1
; COMPUTE_PGM_RSRC2:SCRATCH_EN: 0
; COMPUTE_PGM_RSRC2:USER_SGPR: 6
; COMPUTE_PGM_RSRC2:TRAP_HANDLER: 0
; COMPUTE_PGM_RSRC2:TGID_X_EN: 1
; COMPUTE_PGM_RSRC2:TGID_Y_EN: 0
; COMPUTE_PGM_RSRC2:TGID_Z_EN: 0
; COMPUTE_PGM_RSRC2:TIDIG_COMP_CNT: 0
	.section	.text._ZN9rocsparseL11gthr_kernelILj512Ei21rocsparse_complex_numIfEEEvT0_PKT1_PS4_PKS3_21rocsparse_index_base_,"axG",@progbits,_ZN9rocsparseL11gthr_kernelILj512Ei21rocsparse_complex_numIfEEEvT0_PKT1_PS4_PKS3_21rocsparse_index_base_,comdat
	.globl	_ZN9rocsparseL11gthr_kernelILj512Ei21rocsparse_complex_numIfEEEvT0_PKT1_PS4_PKS3_21rocsparse_index_base_ ; -- Begin function _ZN9rocsparseL11gthr_kernelILj512Ei21rocsparse_complex_numIfEEEvT0_PKT1_PS4_PKS3_21rocsparse_index_base_
	.p2align	8
	.type	_ZN9rocsparseL11gthr_kernelILj512Ei21rocsparse_complex_numIfEEEvT0_PKT1_PS4_PKS3_21rocsparse_index_base_,@function
_ZN9rocsparseL11gthr_kernelILj512Ei21rocsparse_complex_numIfEEEvT0_PKT1_PS4_PKS3_21rocsparse_index_base_: ; @_ZN9rocsparseL11gthr_kernelILj512Ei21rocsparse_complex_numIfEEEvT0_PKT1_PS4_PKS3_21rocsparse_index_base_
; %bb.0:
	s_load_dword s0, s[4:5], 0x0
	v_lshl_or_b32 v0, s6, 9, v0
	s_waitcnt lgkmcnt(0)
	v_cmp_gt_i32_e32 vcc, s0, v0
	s_and_saveexec_b64 s[0:1], vcc
	s_cbranch_execz .LBB9_2
; %bb.1:
	s_load_dwordx2 s[0:1], s[4:5], 0x18
	v_ashrrev_i32_e32 v1, 31, v0
	v_lshlrev_b64 v[2:3], 2, v[0:1]
	v_lshlrev_b64 v[0:1], 3, v[0:1]
	s_waitcnt lgkmcnt(0)
	v_mov_b32_e32 v4, s1
	v_add_co_u32_e32 v2, vcc, s0, v2
	v_addc_co_u32_e32 v3, vcc, v4, v3, vcc
	global_load_dword v2, v[2:3], off
	s_load_dwordx4 s[0:3], s[4:5], 0x8
	s_load_dword s6, s[4:5], 0x20
	s_waitcnt lgkmcnt(0)
	v_mov_b32_e32 v4, s1
	s_waitcnt vmcnt(0)
	v_subrev_u32_e32 v2, s6, v2
	v_ashrrev_i32_e32 v3, 31, v2
	v_lshlrev_b64 v[2:3], 3, v[2:3]
	v_add_co_u32_e32 v2, vcc, s0, v2
	v_addc_co_u32_e32 v3, vcc, v4, v3, vcc
	global_load_dwordx2 v[2:3], v[2:3], off
	v_mov_b32_e32 v4, s3
	v_add_co_u32_e32 v0, vcc, s2, v0
	v_addc_co_u32_e32 v1, vcc, v4, v1, vcc
	s_waitcnt vmcnt(0)
	global_store_dwordx2 v[0:1], v[2:3], off
.LBB9_2:
	s_endpgm
	.section	.rodata,"a",@progbits
	.p2align	6, 0x0
	.amdhsa_kernel _ZN9rocsparseL11gthr_kernelILj512Ei21rocsparse_complex_numIfEEEvT0_PKT1_PS4_PKS3_21rocsparse_index_base_
		.amdhsa_group_segment_fixed_size 0
		.amdhsa_private_segment_fixed_size 0
		.amdhsa_kernarg_size 36
		.amdhsa_user_sgpr_count 6
		.amdhsa_user_sgpr_private_segment_buffer 1
		.amdhsa_user_sgpr_dispatch_ptr 0
		.amdhsa_user_sgpr_queue_ptr 0
		.amdhsa_user_sgpr_kernarg_segment_ptr 1
		.amdhsa_user_sgpr_dispatch_id 0
		.amdhsa_user_sgpr_flat_scratch_init 0
		.amdhsa_user_sgpr_private_segment_size 0
		.amdhsa_uses_dynamic_stack 0
		.amdhsa_system_sgpr_private_segment_wavefront_offset 0
		.amdhsa_system_sgpr_workgroup_id_x 1
		.amdhsa_system_sgpr_workgroup_id_y 0
		.amdhsa_system_sgpr_workgroup_id_z 0
		.amdhsa_system_sgpr_workgroup_info 0
		.amdhsa_system_vgpr_workitem_id 0
		.amdhsa_next_free_vgpr 5
		.amdhsa_next_free_sgpr 7
		.amdhsa_reserve_vcc 1
		.amdhsa_reserve_flat_scratch 0
		.amdhsa_float_round_mode_32 0
		.amdhsa_float_round_mode_16_64 0
		.amdhsa_float_denorm_mode_32 3
		.amdhsa_float_denorm_mode_16_64 3
		.amdhsa_dx10_clamp 1
		.amdhsa_ieee_mode 1
		.amdhsa_fp16_overflow 0
		.amdhsa_exception_fp_ieee_invalid_op 0
		.amdhsa_exception_fp_denorm_src 0
		.amdhsa_exception_fp_ieee_div_zero 0
		.amdhsa_exception_fp_ieee_overflow 0
		.amdhsa_exception_fp_ieee_underflow 0
		.amdhsa_exception_fp_ieee_inexact 0
		.amdhsa_exception_int_div_zero 0
	.end_amdhsa_kernel
	.section	.text._ZN9rocsparseL11gthr_kernelILj512Ei21rocsparse_complex_numIfEEEvT0_PKT1_PS4_PKS3_21rocsparse_index_base_,"axG",@progbits,_ZN9rocsparseL11gthr_kernelILj512Ei21rocsparse_complex_numIfEEEvT0_PKT1_PS4_PKS3_21rocsparse_index_base_,comdat
.Lfunc_end9:
	.size	_ZN9rocsparseL11gthr_kernelILj512Ei21rocsparse_complex_numIfEEEvT0_PKT1_PS4_PKS3_21rocsparse_index_base_, .Lfunc_end9-_ZN9rocsparseL11gthr_kernelILj512Ei21rocsparse_complex_numIfEEEvT0_PKT1_PS4_PKS3_21rocsparse_index_base_
                                        ; -- End function
	.set _ZN9rocsparseL11gthr_kernelILj512Ei21rocsparse_complex_numIfEEEvT0_PKT1_PS4_PKS3_21rocsparse_index_base_.num_vgpr, 5
	.set _ZN9rocsparseL11gthr_kernelILj512Ei21rocsparse_complex_numIfEEEvT0_PKT1_PS4_PKS3_21rocsparse_index_base_.num_agpr, 0
	.set _ZN9rocsparseL11gthr_kernelILj512Ei21rocsparse_complex_numIfEEEvT0_PKT1_PS4_PKS3_21rocsparse_index_base_.numbered_sgpr, 7
	.set _ZN9rocsparseL11gthr_kernelILj512Ei21rocsparse_complex_numIfEEEvT0_PKT1_PS4_PKS3_21rocsparse_index_base_.num_named_barrier, 0
	.set _ZN9rocsparseL11gthr_kernelILj512Ei21rocsparse_complex_numIfEEEvT0_PKT1_PS4_PKS3_21rocsparse_index_base_.private_seg_size, 0
	.set _ZN9rocsparseL11gthr_kernelILj512Ei21rocsparse_complex_numIfEEEvT0_PKT1_PS4_PKS3_21rocsparse_index_base_.uses_vcc, 1
	.set _ZN9rocsparseL11gthr_kernelILj512Ei21rocsparse_complex_numIfEEEvT0_PKT1_PS4_PKS3_21rocsparse_index_base_.uses_flat_scratch, 0
	.set _ZN9rocsparseL11gthr_kernelILj512Ei21rocsparse_complex_numIfEEEvT0_PKT1_PS4_PKS3_21rocsparse_index_base_.has_dyn_sized_stack, 0
	.set _ZN9rocsparseL11gthr_kernelILj512Ei21rocsparse_complex_numIfEEEvT0_PKT1_PS4_PKS3_21rocsparse_index_base_.has_recursion, 0
	.set _ZN9rocsparseL11gthr_kernelILj512Ei21rocsparse_complex_numIfEEEvT0_PKT1_PS4_PKS3_21rocsparse_index_base_.has_indirect_call, 0
	.section	.AMDGPU.csdata,"",@progbits
; Kernel info:
; codeLenInByte = 172
; TotalNumSgprs: 11
; NumVgprs: 5
; ScratchSize: 0
; MemoryBound: 0
; FloatMode: 240
; IeeeMode: 1
; LDSByteSize: 0 bytes/workgroup (compile time only)
; SGPRBlocks: 1
; VGPRBlocks: 1
; NumSGPRsForWavesPerEU: 11
; NumVGPRsForWavesPerEU: 5
; Occupancy: 10
; WaveLimiterHint : 1
; COMPUTE_PGM_RSRC2:SCRATCH_EN: 0
; COMPUTE_PGM_RSRC2:USER_SGPR: 6
; COMPUTE_PGM_RSRC2:TRAP_HANDLER: 0
; COMPUTE_PGM_RSRC2:TGID_X_EN: 1
; COMPUTE_PGM_RSRC2:TGID_Y_EN: 0
; COMPUTE_PGM_RSRC2:TGID_Z_EN: 0
; COMPUTE_PGM_RSRC2:TIDIG_COMP_CNT: 0
	.section	.text._ZN9rocsparseL11gthr_kernelILj512Ei21rocsparse_complex_numIdEEEvT0_PKT1_PS4_PKS3_21rocsparse_index_base_,"axG",@progbits,_ZN9rocsparseL11gthr_kernelILj512Ei21rocsparse_complex_numIdEEEvT0_PKT1_PS4_PKS3_21rocsparse_index_base_,comdat
	.globl	_ZN9rocsparseL11gthr_kernelILj512Ei21rocsparse_complex_numIdEEEvT0_PKT1_PS4_PKS3_21rocsparse_index_base_ ; -- Begin function _ZN9rocsparseL11gthr_kernelILj512Ei21rocsparse_complex_numIdEEEvT0_PKT1_PS4_PKS3_21rocsparse_index_base_
	.p2align	8
	.type	_ZN9rocsparseL11gthr_kernelILj512Ei21rocsparse_complex_numIdEEEvT0_PKT1_PS4_PKS3_21rocsparse_index_base_,@function
_ZN9rocsparseL11gthr_kernelILj512Ei21rocsparse_complex_numIdEEEvT0_PKT1_PS4_PKS3_21rocsparse_index_base_: ; @_ZN9rocsparseL11gthr_kernelILj512Ei21rocsparse_complex_numIdEEEvT0_PKT1_PS4_PKS3_21rocsparse_index_base_
; %bb.0:
	s_load_dword s0, s[4:5], 0x0
	v_lshl_or_b32 v0, s6, 9, v0
	s_waitcnt lgkmcnt(0)
	v_cmp_gt_i32_e32 vcc, s0, v0
	s_and_saveexec_b64 s[0:1], vcc
	s_cbranch_execz .LBB10_2
; %bb.1:
	s_load_dwordx2 s[0:1], s[4:5], 0x18
	v_ashrrev_i32_e32 v1, 31, v0
	v_lshlrev_b64 v[2:3], 2, v[0:1]
	v_lshlrev_b64 v[0:1], 4, v[0:1]
	s_waitcnt lgkmcnt(0)
	v_mov_b32_e32 v4, s1
	v_add_co_u32_e32 v2, vcc, s0, v2
	v_addc_co_u32_e32 v3, vcc, v4, v3, vcc
	global_load_dword v2, v[2:3], off
	s_load_dwordx4 s[0:3], s[4:5], 0x8
	s_load_dword s6, s[4:5], 0x20
	s_waitcnt lgkmcnt(0)
	v_mov_b32_e32 v4, s1
	v_mov_b32_e32 v6, s3
	s_waitcnt vmcnt(0)
	v_subrev_u32_e32 v2, s6, v2
	v_ashrrev_i32_e32 v3, 31, v2
	v_lshlrev_b64 v[2:3], 4, v[2:3]
	v_add_co_u32_e32 v2, vcc, s0, v2
	v_addc_co_u32_e32 v3, vcc, v4, v3, vcc
	global_load_dwordx4 v[2:5], v[2:3], off
	v_add_co_u32_e32 v0, vcc, s2, v0
	v_addc_co_u32_e32 v1, vcc, v6, v1, vcc
	s_waitcnt vmcnt(0)
	global_store_dwordx4 v[0:1], v[2:5], off
.LBB10_2:
	s_endpgm
	.section	.rodata,"a",@progbits
	.p2align	6, 0x0
	.amdhsa_kernel _ZN9rocsparseL11gthr_kernelILj512Ei21rocsparse_complex_numIdEEEvT0_PKT1_PS4_PKS3_21rocsparse_index_base_
		.amdhsa_group_segment_fixed_size 0
		.amdhsa_private_segment_fixed_size 0
		.amdhsa_kernarg_size 36
		.amdhsa_user_sgpr_count 6
		.amdhsa_user_sgpr_private_segment_buffer 1
		.amdhsa_user_sgpr_dispatch_ptr 0
		.amdhsa_user_sgpr_queue_ptr 0
		.amdhsa_user_sgpr_kernarg_segment_ptr 1
		.amdhsa_user_sgpr_dispatch_id 0
		.amdhsa_user_sgpr_flat_scratch_init 0
		.amdhsa_user_sgpr_private_segment_size 0
		.amdhsa_uses_dynamic_stack 0
		.amdhsa_system_sgpr_private_segment_wavefront_offset 0
		.amdhsa_system_sgpr_workgroup_id_x 1
		.amdhsa_system_sgpr_workgroup_id_y 0
		.amdhsa_system_sgpr_workgroup_id_z 0
		.amdhsa_system_sgpr_workgroup_info 0
		.amdhsa_system_vgpr_workitem_id 0
		.amdhsa_next_free_vgpr 7
		.amdhsa_next_free_sgpr 7
		.amdhsa_reserve_vcc 1
		.amdhsa_reserve_flat_scratch 0
		.amdhsa_float_round_mode_32 0
		.amdhsa_float_round_mode_16_64 0
		.amdhsa_float_denorm_mode_32 3
		.amdhsa_float_denorm_mode_16_64 3
		.amdhsa_dx10_clamp 1
		.amdhsa_ieee_mode 1
		.amdhsa_fp16_overflow 0
		.amdhsa_exception_fp_ieee_invalid_op 0
		.amdhsa_exception_fp_denorm_src 0
		.amdhsa_exception_fp_ieee_div_zero 0
		.amdhsa_exception_fp_ieee_overflow 0
		.amdhsa_exception_fp_ieee_underflow 0
		.amdhsa_exception_fp_ieee_inexact 0
		.amdhsa_exception_int_div_zero 0
	.end_amdhsa_kernel
	.section	.text._ZN9rocsparseL11gthr_kernelILj512Ei21rocsparse_complex_numIdEEEvT0_PKT1_PS4_PKS3_21rocsparse_index_base_,"axG",@progbits,_ZN9rocsparseL11gthr_kernelILj512Ei21rocsparse_complex_numIdEEEvT0_PKT1_PS4_PKS3_21rocsparse_index_base_,comdat
.Lfunc_end10:
	.size	_ZN9rocsparseL11gthr_kernelILj512Ei21rocsparse_complex_numIdEEEvT0_PKT1_PS4_PKS3_21rocsparse_index_base_, .Lfunc_end10-_ZN9rocsparseL11gthr_kernelILj512Ei21rocsparse_complex_numIdEEEvT0_PKT1_PS4_PKS3_21rocsparse_index_base_
                                        ; -- End function
	.set _ZN9rocsparseL11gthr_kernelILj512Ei21rocsparse_complex_numIdEEEvT0_PKT1_PS4_PKS3_21rocsparse_index_base_.num_vgpr, 7
	.set _ZN9rocsparseL11gthr_kernelILj512Ei21rocsparse_complex_numIdEEEvT0_PKT1_PS4_PKS3_21rocsparse_index_base_.num_agpr, 0
	.set _ZN9rocsparseL11gthr_kernelILj512Ei21rocsparse_complex_numIdEEEvT0_PKT1_PS4_PKS3_21rocsparse_index_base_.numbered_sgpr, 7
	.set _ZN9rocsparseL11gthr_kernelILj512Ei21rocsparse_complex_numIdEEEvT0_PKT1_PS4_PKS3_21rocsparse_index_base_.num_named_barrier, 0
	.set _ZN9rocsparseL11gthr_kernelILj512Ei21rocsparse_complex_numIdEEEvT0_PKT1_PS4_PKS3_21rocsparse_index_base_.private_seg_size, 0
	.set _ZN9rocsparseL11gthr_kernelILj512Ei21rocsparse_complex_numIdEEEvT0_PKT1_PS4_PKS3_21rocsparse_index_base_.uses_vcc, 1
	.set _ZN9rocsparseL11gthr_kernelILj512Ei21rocsparse_complex_numIdEEEvT0_PKT1_PS4_PKS3_21rocsparse_index_base_.uses_flat_scratch, 0
	.set _ZN9rocsparseL11gthr_kernelILj512Ei21rocsparse_complex_numIdEEEvT0_PKT1_PS4_PKS3_21rocsparse_index_base_.has_dyn_sized_stack, 0
	.set _ZN9rocsparseL11gthr_kernelILj512Ei21rocsparse_complex_numIdEEEvT0_PKT1_PS4_PKS3_21rocsparse_index_base_.has_recursion, 0
	.set _ZN9rocsparseL11gthr_kernelILj512Ei21rocsparse_complex_numIdEEEvT0_PKT1_PS4_PKS3_21rocsparse_index_base_.has_indirect_call, 0
	.section	.AMDGPU.csdata,"",@progbits
; Kernel info:
; codeLenInByte = 172
; TotalNumSgprs: 11
; NumVgprs: 7
; ScratchSize: 0
; MemoryBound: 0
; FloatMode: 240
; IeeeMode: 1
; LDSByteSize: 0 bytes/workgroup (compile time only)
; SGPRBlocks: 1
; VGPRBlocks: 1
; NumSGPRsForWavesPerEU: 11
; NumVGPRsForWavesPerEU: 7
; Occupancy: 10
; WaveLimiterHint : 0
; COMPUTE_PGM_RSRC2:SCRATCH_EN: 0
; COMPUTE_PGM_RSRC2:USER_SGPR: 6
; COMPUTE_PGM_RSRC2:TRAP_HANDLER: 0
; COMPUTE_PGM_RSRC2:TGID_X_EN: 1
; COMPUTE_PGM_RSRC2:TGID_Y_EN: 0
; COMPUTE_PGM_RSRC2:TGID_Z_EN: 0
; COMPUTE_PGM_RSRC2:TIDIG_COMP_CNT: 0
	.section	.text._ZN9rocsparseL11gthr_kernelILj512ElaEEvT0_PKT1_PS2_PKS1_21rocsparse_index_base_,"axG",@progbits,_ZN9rocsparseL11gthr_kernelILj512ElaEEvT0_PKT1_PS2_PKS1_21rocsparse_index_base_,comdat
	.globl	_ZN9rocsparseL11gthr_kernelILj512ElaEEvT0_PKT1_PS2_PKS1_21rocsparse_index_base_ ; -- Begin function _ZN9rocsparseL11gthr_kernelILj512ElaEEvT0_PKT1_PS2_PKS1_21rocsparse_index_base_
	.p2align	8
	.type	_ZN9rocsparseL11gthr_kernelILj512ElaEEvT0_PKT1_PS2_PKS1_21rocsparse_index_base_,@function
_ZN9rocsparseL11gthr_kernelILj512ElaEEvT0_PKT1_PS2_PKS1_21rocsparse_index_base_: ; @_ZN9rocsparseL11gthr_kernelILj512ElaEEvT0_PKT1_PS2_PKS1_21rocsparse_index_base_
; %bb.0:
	s_load_dwordx8 s[8:15], s[4:5], 0x0
	v_lshl_or_b32 v0, s6, 9, v0
	v_mov_b32_e32 v1, 0
	s_waitcnt lgkmcnt(0)
	v_cmp_gt_i64_e32 vcc, s[8:9], v[0:1]
	s_and_saveexec_b64 s[0:1], vcc
	s_cbranch_execz .LBB11_2
; %bb.1:
	v_lshlrev_b64 v[1:2], 3, v[0:1]
	v_mov_b32_e32 v3, s15
	v_add_co_u32_e32 v1, vcc, s14, v1
	v_addc_co_u32_e32 v2, vcc, v3, v2, vcc
	global_load_dwordx2 v[1:2], v[1:2], off
	s_load_dword s0, s[4:5], 0x20
	v_mov_b32_e32 v3, s11
	s_waitcnt vmcnt(0) lgkmcnt(0)
	v_subrev_co_u32_e32 v1, vcc, s0, v1
	v_subbrev_co_u32_e32 v2, vcc, 0, v2, vcc
	v_add_co_u32_e32 v1, vcc, s10, v1
	v_addc_co_u32_e32 v2, vcc, v3, v2, vcc
	global_load_ubyte v2, v[1:2], off
	v_mov_b32_e32 v1, s13
	v_add_co_u32_e32 v0, vcc, s12, v0
	v_addc_co_u32_e32 v1, vcc, 0, v1, vcc
	s_waitcnt vmcnt(0)
	global_store_byte v[0:1], v2, off
.LBB11_2:
	s_endpgm
	.section	.rodata,"a",@progbits
	.p2align	6, 0x0
	.amdhsa_kernel _ZN9rocsparseL11gthr_kernelILj512ElaEEvT0_PKT1_PS2_PKS1_21rocsparse_index_base_
		.amdhsa_group_segment_fixed_size 0
		.amdhsa_private_segment_fixed_size 0
		.amdhsa_kernarg_size 36
		.amdhsa_user_sgpr_count 6
		.amdhsa_user_sgpr_private_segment_buffer 1
		.amdhsa_user_sgpr_dispatch_ptr 0
		.amdhsa_user_sgpr_queue_ptr 0
		.amdhsa_user_sgpr_kernarg_segment_ptr 1
		.amdhsa_user_sgpr_dispatch_id 0
		.amdhsa_user_sgpr_flat_scratch_init 0
		.amdhsa_user_sgpr_private_segment_size 0
		.amdhsa_uses_dynamic_stack 0
		.amdhsa_system_sgpr_private_segment_wavefront_offset 0
		.amdhsa_system_sgpr_workgroup_id_x 1
		.amdhsa_system_sgpr_workgroup_id_y 0
		.amdhsa_system_sgpr_workgroup_id_z 0
		.amdhsa_system_sgpr_workgroup_info 0
		.amdhsa_system_vgpr_workitem_id 0
		.amdhsa_next_free_vgpr 4
		.amdhsa_next_free_sgpr 16
		.amdhsa_reserve_vcc 1
		.amdhsa_reserve_flat_scratch 0
		.amdhsa_float_round_mode_32 0
		.amdhsa_float_round_mode_16_64 0
		.amdhsa_float_denorm_mode_32 3
		.amdhsa_float_denorm_mode_16_64 3
		.amdhsa_dx10_clamp 1
		.amdhsa_ieee_mode 1
		.amdhsa_fp16_overflow 0
		.amdhsa_exception_fp_ieee_invalid_op 0
		.amdhsa_exception_fp_denorm_src 0
		.amdhsa_exception_fp_ieee_div_zero 0
		.amdhsa_exception_fp_ieee_overflow 0
		.amdhsa_exception_fp_ieee_underflow 0
		.amdhsa_exception_fp_ieee_inexact 0
		.amdhsa_exception_int_div_zero 0
	.end_amdhsa_kernel
	.section	.text._ZN9rocsparseL11gthr_kernelILj512ElaEEvT0_PKT1_PS2_PKS1_21rocsparse_index_base_,"axG",@progbits,_ZN9rocsparseL11gthr_kernelILj512ElaEEvT0_PKT1_PS2_PKS1_21rocsparse_index_base_,comdat
.Lfunc_end11:
	.size	_ZN9rocsparseL11gthr_kernelILj512ElaEEvT0_PKT1_PS2_PKS1_21rocsparse_index_base_, .Lfunc_end11-_ZN9rocsparseL11gthr_kernelILj512ElaEEvT0_PKT1_PS2_PKS1_21rocsparse_index_base_
                                        ; -- End function
	.set _ZN9rocsparseL11gthr_kernelILj512ElaEEvT0_PKT1_PS2_PKS1_21rocsparse_index_base_.num_vgpr, 4
	.set _ZN9rocsparseL11gthr_kernelILj512ElaEEvT0_PKT1_PS2_PKS1_21rocsparse_index_base_.num_agpr, 0
	.set _ZN9rocsparseL11gthr_kernelILj512ElaEEvT0_PKT1_PS2_PKS1_21rocsparse_index_base_.numbered_sgpr, 16
	.set _ZN9rocsparseL11gthr_kernelILj512ElaEEvT0_PKT1_PS2_PKS1_21rocsparse_index_base_.num_named_barrier, 0
	.set _ZN9rocsparseL11gthr_kernelILj512ElaEEvT0_PKT1_PS2_PKS1_21rocsparse_index_base_.private_seg_size, 0
	.set _ZN9rocsparseL11gthr_kernelILj512ElaEEvT0_PKT1_PS2_PKS1_21rocsparse_index_base_.uses_vcc, 1
	.set _ZN9rocsparseL11gthr_kernelILj512ElaEEvT0_PKT1_PS2_PKS1_21rocsparse_index_base_.uses_flat_scratch, 0
	.set _ZN9rocsparseL11gthr_kernelILj512ElaEEvT0_PKT1_PS2_PKS1_21rocsparse_index_base_.has_dyn_sized_stack, 0
	.set _ZN9rocsparseL11gthr_kernelILj512ElaEEvT0_PKT1_PS2_PKS1_21rocsparse_index_base_.has_recursion, 0
	.set _ZN9rocsparseL11gthr_kernelILj512ElaEEvT0_PKT1_PS2_PKS1_21rocsparse_index_base_.has_indirect_call, 0
	.section	.AMDGPU.csdata,"",@progbits
; Kernel info:
; codeLenInByte = 132
; TotalNumSgprs: 20
; NumVgprs: 4
; ScratchSize: 0
; MemoryBound: 0
; FloatMode: 240
; IeeeMode: 1
; LDSByteSize: 0 bytes/workgroup (compile time only)
; SGPRBlocks: 2
; VGPRBlocks: 0
; NumSGPRsForWavesPerEU: 20
; NumVGPRsForWavesPerEU: 4
; Occupancy: 10
; WaveLimiterHint : 1
; COMPUTE_PGM_RSRC2:SCRATCH_EN: 0
; COMPUTE_PGM_RSRC2:USER_SGPR: 6
; COMPUTE_PGM_RSRC2:TRAP_HANDLER: 0
; COMPUTE_PGM_RSRC2:TGID_X_EN: 1
; COMPUTE_PGM_RSRC2:TGID_Y_EN: 0
; COMPUTE_PGM_RSRC2:TGID_Z_EN: 0
; COMPUTE_PGM_RSRC2:TIDIG_COMP_CNT: 0
	.section	.text._ZN9rocsparseL11gthr_kernelILj512EliEEvT0_PKT1_PS2_PKS1_21rocsparse_index_base_,"axG",@progbits,_ZN9rocsparseL11gthr_kernelILj512EliEEvT0_PKT1_PS2_PKS1_21rocsparse_index_base_,comdat
	.globl	_ZN9rocsparseL11gthr_kernelILj512EliEEvT0_PKT1_PS2_PKS1_21rocsparse_index_base_ ; -- Begin function _ZN9rocsparseL11gthr_kernelILj512EliEEvT0_PKT1_PS2_PKS1_21rocsparse_index_base_
	.p2align	8
	.type	_ZN9rocsparseL11gthr_kernelILj512EliEEvT0_PKT1_PS2_PKS1_21rocsparse_index_base_,@function
_ZN9rocsparseL11gthr_kernelILj512EliEEvT0_PKT1_PS2_PKS1_21rocsparse_index_base_: ; @_ZN9rocsparseL11gthr_kernelILj512EliEEvT0_PKT1_PS2_PKS1_21rocsparse_index_base_
; %bb.0:
	s_load_dwordx8 s[8:15], s[4:5], 0x0
	v_lshl_or_b32 v0, s6, 9, v0
	v_mov_b32_e32 v1, 0
	s_waitcnt lgkmcnt(0)
	v_cmp_gt_i64_e32 vcc, s[8:9], v[0:1]
	s_and_saveexec_b64 s[0:1], vcc
	s_cbranch_execz .LBB12_2
; %bb.1:
	v_lshlrev_b64 v[2:3], 3, v[0:1]
	v_mov_b32_e32 v4, s15
	v_add_co_u32_e32 v2, vcc, s14, v2
	v_addc_co_u32_e32 v3, vcc, v4, v3, vcc
	global_load_dwordx2 v[2:3], v[2:3], off
	s_load_dword s0, s[4:5], 0x20
	v_mov_b32_e32 v4, s11
	v_lshlrev_b64 v[0:1], 2, v[0:1]
	s_waitcnt vmcnt(0) lgkmcnt(0)
	v_subrev_co_u32_e32 v2, vcc, s0, v2
	v_subbrev_co_u32_e32 v3, vcc, 0, v3, vcc
	v_lshlrev_b64 v[2:3], 2, v[2:3]
	v_add_co_u32_e32 v2, vcc, s10, v2
	v_addc_co_u32_e32 v3, vcc, v4, v3, vcc
	global_load_dword v2, v[2:3], off
	v_mov_b32_e32 v3, s13
	v_add_co_u32_e32 v0, vcc, s12, v0
	v_addc_co_u32_e32 v1, vcc, v3, v1, vcc
	s_waitcnt vmcnt(0)
	global_store_dword v[0:1], v2, off
.LBB12_2:
	s_endpgm
	.section	.rodata,"a",@progbits
	.p2align	6, 0x0
	.amdhsa_kernel _ZN9rocsparseL11gthr_kernelILj512EliEEvT0_PKT1_PS2_PKS1_21rocsparse_index_base_
		.amdhsa_group_segment_fixed_size 0
		.amdhsa_private_segment_fixed_size 0
		.amdhsa_kernarg_size 36
		.amdhsa_user_sgpr_count 6
		.amdhsa_user_sgpr_private_segment_buffer 1
		.amdhsa_user_sgpr_dispatch_ptr 0
		.amdhsa_user_sgpr_queue_ptr 0
		.amdhsa_user_sgpr_kernarg_segment_ptr 1
		.amdhsa_user_sgpr_dispatch_id 0
		.amdhsa_user_sgpr_flat_scratch_init 0
		.amdhsa_user_sgpr_private_segment_size 0
		.amdhsa_uses_dynamic_stack 0
		.amdhsa_system_sgpr_private_segment_wavefront_offset 0
		.amdhsa_system_sgpr_workgroup_id_x 1
		.amdhsa_system_sgpr_workgroup_id_y 0
		.amdhsa_system_sgpr_workgroup_id_z 0
		.amdhsa_system_sgpr_workgroup_info 0
		.amdhsa_system_vgpr_workitem_id 0
		.amdhsa_next_free_vgpr 5
		.amdhsa_next_free_sgpr 16
		.amdhsa_reserve_vcc 1
		.amdhsa_reserve_flat_scratch 0
		.amdhsa_float_round_mode_32 0
		.amdhsa_float_round_mode_16_64 0
		.amdhsa_float_denorm_mode_32 3
		.amdhsa_float_denorm_mode_16_64 3
		.amdhsa_dx10_clamp 1
		.amdhsa_ieee_mode 1
		.amdhsa_fp16_overflow 0
		.amdhsa_exception_fp_ieee_invalid_op 0
		.amdhsa_exception_fp_denorm_src 0
		.amdhsa_exception_fp_ieee_div_zero 0
		.amdhsa_exception_fp_ieee_overflow 0
		.amdhsa_exception_fp_ieee_underflow 0
		.amdhsa_exception_fp_ieee_inexact 0
		.amdhsa_exception_int_div_zero 0
	.end_amdhsa_kernel
	.section	.text._ZN9rocsparseL11gthr_kernelILj512EliEEvT0_PKT1_PS2_PKS1_21rocsparse_index_base_,"axG",@progbits,_ZN9rocsparseL11gthr_kernelILj512EliEEvT0_PKT1_PS2_PKS1_21rocsparse_index_base_,comdat
.Lfunc_end12:
	.size	_ZN9rocsparseL11gthr_kernelILj512EliEEvT0_PKT1_PS2_PKS1_21rocsparse_index_base_, .Lfunc_end12-_ZN9rocsparseL11gthr_kernelILj512EliEEvT0_PKT1_PS2_PKS1_21rocsparse_index_base_
                                        ; -- End function
	.set _ZN9rocsparseL11gthr_kernelILj512EliEEvT0_PKT1_PS2_PKS1_21rocsparse_index_base_.num_vgpr, 5
	.set _ZN9rocsparseL11gthr_kernelILj512EliEEvT0_PKT1_PS2_PKS1_21rocsparse_index_base_.num_agpr, 0
	.set _ZN9rocsparseL11gthr_kernelILj512EliEEvT0_PKT1_PS2_PKS1_21rocsparse_index_base_.numbered_sgpr, 16
	.set _ZN9rocsparseL11gthr_kernelILj512EliEEvT0_PKT1_PS2_PKS1_21rocsparse_index_base_.num_named_barrier, 0
	.set _ZN9rocsparseL11gthr_kernelILj512EliEEvT0_PKT1_PS2_PKS1_21rocsparse_index_base_.private_seg_size, 0
	.set _ZN9rocsparseL11gthr_kernelILj512EliEEvT0_PKT1_PS2_PKS1_21rocsparse_index_base_.uses_vcc, 1
	.set _ZN9rocsparseL11gthr_kernelILj512EliEEvT0_PKT1_PS2_PKS1_21rocsparse_index_base_.uses_flat_scratch, 0
	.set _ZN9rocsparseL11gthr_kernelILj512EliEEvT0_PKT1_PS2_PKS1_21rocsparse_index_base_.has_dyn_sized_stack, 0
	.set _ZN9rocsparseL11gthr_kernelILj512EliEEvT0_PKT1_PS2_PKS1_21rocsparse_index_base_.has_recursion, 0
	.set _ZN9rocsparseL11gthr_kernelILj512EliEEvT0_PKT1_PS2_PKS1_21rocsparse_index_base_.has_indirect_call, 0
	.section	.AMDGPU.csdata,"",@progbits
; Kernel info:
; codeLenInByte = 148
; TotalNumSgprs: 20
; NumVgprs: 5
; ScratchSize: 0
; MemoryBound: 0
; FloatMode: 240
; IeeeMode: 1
; LDSByteSize: 0 bytes/workgroup (compile time only)
; SGPRBlocks: 2
; VGPRBlocks: 1
; NumSGPRsForWavesPerEU: 20
; NumVGPRsForWavesPerEU: 5
; Occupancy: 10
; WaveLimiterHint : 1
; COMPUTE_PGM_RSRC2:SCRATCH_EN: 0
; COMPUTE_PGM_RSRC2:USER_SGPR: 6
; COMPUTE_PGM_RSRC2:TRAP_HANDLER: 0
; COMPUTE_PGM_RSRC2:TGID_X_EN: 1
; COMPUTE_PGM_RSRC2:TGID_Y_EN: 0
; COMPUTE_PGM_RSRC2:TGID_Z_EN: 0
; COMPUTE_PGM_RSRC2:TIDIG_COMP_CNT: 0
	.section	.text._ZN9rocsparseL11gthr_kernelILj512ElhEEvT0_PKT1_PS2_PKS1_21rocsparse_index_base_,"axG",@progbits,_ZN9rocsparseL11gthr_kernelILj512ElhEEvT0_PKT1_PS2_PKS1_21rocsparse_index_base_,comdat
	.globl	_ZN9rocsparseL11gthr_kernelILj512ElhEEvT0_PKT1_PS2_PKS1_21rocsparse_index_base_ ; -- Begin function _ZN9rocsparseL11gthr_kernelILj512ElhEEvT0_PKT1_PS2_PKS1_21rocsparse_index_base_
	.p2align	8
	.type	_ZN9rocsparseL11gthr_kernelILj512ElhEEvT0_PKT1_PS2_PKS1_21rocsparse_index_base_,@function
_ZN9rocsparseL11gthr_kernelILj512ElhEEvT0_PKT1_PS2_PKS1_21rocsparse_index_base_: ; @_ZN9rocsparseL11gthr_kernelILj512ElhEEvT0_PKT1_PS2_PKS1_21rocsparse_index_base_
; %bb.0:
	s_load_dwordx8 s[8:15], s[4:5], 0x0
	v_lshl_or_b32 v0, s6, 9, v0
	v_mov_b32_e32 v1, 0
	s_waitcnt lgkmcnt(0)
	v_cmp_gt_i64_e32 vcc, s[8:9], v[0:1]
	s_and_saveexec_b64 s[0:1], vcc
	s_cbranch_execz .LBB13_2
; %bb.1:
	v_lshlrev_b64 v[1:2], 3, v[0:1]
	v_mov_b32_e32 v3, s15
	v_add_co_u32_e32 v1, vcc, s14, v1
	v_addc_co_u32_e32 v2, vcc, v3, v2, vcc
	global_load_dwordx2 v[1:2], v[1:2], off
	s_load_dword s0, s[4:5], 0x20
	v_mov_b32_e32 v3, s11
	s_waitcnt vmcnt(0) lgkmcnt(0)
	v_subrev_co_u32_e32 v1, vcc, s0, v1
	v_subbrev_co_u32_e32 v2, vcc, 0, v2, vcc
	v_add_co_u32_e32 v1, vcc, s10, v1
	v_addc_co_u32_e32 v2, vcc, v3, v2, vcc
	global_load_ubyte v2, v[1:2], off
	v_mov_b32_e32 v1, s13
	v_add_co_u32_e32 v0, vcc, s12, v0
	v_addc_co_u32_e32 v1, vcc, 0, v1, vcc
	s_waitcnt vmcnt(0)
	global_store_byte v[0:1], v2, off
.LBB13_2:
	s_endpgm
	.section	.rodata,"a",@progbits
	.p2align	6, 0x0
	.amdhsa_kernel _ZN9rocsparseL11gthr_kernelILj512ElhEEvT0_PKT1_PS2_PKS1_21rocsparse_index_base_
		.amdhsa_group_segment_fixed_size 0
		.amdhsa_private_segment_fixed_size 0
		.amdhsa_kernarg_size 36
		.amdhsa_user_sgpr_count 6
		.amdhsa_user_sgpr_private_segment_buffer 1
		.amdhsa_user_sgpr_dispatch_ptr 0
		.amdhsa_user_sgpr_queue_ptr 0
		.amdhsa_user_sgpr_kernarg_segment_ptr 1
		.amdhsa_user_sgpr_dispatch_id 0
		.amdhsa_user_sgpr_flat_scratch_init 0
		.amdhsa_user_sgpr_private_segment_size 0
		.amdhsa_uses_dynamic_stack 0
		.amdhsa_system_sgpr_private_segment_wavefront_offset 0
		.amdhsa_system_sgpr_workgroup_id_x 1
		.amdhsa_system_sgpr_workgroup_id_y 0
		.amdhsa_system_sgpr_workgroup_id_z 0
		.amdhsa_system_sgpr_workgroup_info 0
		.amdhsa_system_vgpr_workitem_id 0
		.amdhsa_next_free_vgpr 4
		.amdhsa_next_free_sgpr 16
		.amdhsa_reserve_vcc 1
		.amdhsa_reserve_flat_scratch 0
		.amdhsa_float_round_mode_32 0
		.amdhsa_float_round_mode_16_64 0
		.amdhsa_float_denorm_mode_32 3
		.amdhsa_float_denorm_mode_16_64 3
		.amdhsa_dx10_clamp 1
		.amdhsa_ieee_mode 1
		.amdhsa_fp16_overflow 0
		.amdhsa_exception_fp_ieee_invalid_op 0
		.amdhsa_exception_fp_denorm_src 0
		.amdhsa_exception_fp_ieee_div_zero 0
		.amdhsa_exception_fp_ieee_overflow 0
		.amdhsa_exception_fp_ieee_underflow 0
		.amdhsa_exception_fp_ieee_inexact 0
		.amdhsa_exception_int_div_zero 0
	.end_amdhsa_kernel
	.section	.text._ZN9rocsparseL11gthr_kernelILj512ElhEEvT0_PKT1_PS2_PKS1_21rocsparse_index_base_,"axG",@progbits,_ZN9rocsparseL11gthr_kernelILj512ElhEEvT0_PKT1_PS2_PKS1_21rocsparse_index_base_,comdat
.Lfunc_end13:
	.size	_ZN9rocsparseL11gthr_kernelILj512ElhEEvT0_PKT1_PS2_PKS1_21rocsparse_index_base_, .Lfunc_end13-_ZN9rocsparseL11gthr_kernelILj512ElhEEvT0_PKT1_PS2_PKS1_21rocsparse_index_base_
                                        ; -- End function
	.set _ZN9rocsparseL11gthr_kernelILj512ElhEEvT0_PKT1_PS2_PKS1_21rocsparse_index_base_.num_vgpr, 4
	.set _ZN9rocsparseL11gthr_kernelILj512ElhEEvT0_PKT1_PS2_PKS1_21rocsparse_index_base_.num_agpr, 0
	.set _ZN9rocsparseL11gthr_kernelILj512ElhEEvT0_PKT1_PS2_PKS1_21rocsparse_index_base_.numbered_sgpr, 16
	.set _ZN9rocsparseL11gthr_kernelILj512ElhEEvT0_PKT1_PS2_PKS1_21rocsparse_index_base_.num_named_barrier, 0
	.set _ZN9rocsparseL11gthr_kernelILj512ElhEEvT0_PKT1_PS2_PKS1_21rocsparse_index_base_.private_seg_size, 0
	.set _ZN9rocsparseL11gthr_kernelILj512ElhEEvT0_PKT1_PS2_PKS1_21rocsparse_index_base_.uses_vcc, 1
	.set _ZN9rocsparseL11gthr_kernelILj512ElhEEvT0_PKT1_PS2_PKS1_21rocsparse_index_base_.uses_flat_scratch, 0
	.set _ZN9rocsparseL11gthr_kernelILj512ElhEEvT0_PKT1_PS2_PKS1_21rocsparse_index_base_.has_dyn_sized_stack, 0
	.set _ZN9rocsparseL11gthr_kernelILj512ElhEEvT0_PKT1_PS2_PKS1_21rocsparse_index_base_.has_recursion, 0
	.set _ZN9rocsparseL11gthr_kernelILj512ElhEEvT0_PKT1_PS2_PKS1_21rocsparse_index_base_.has_indirect_call, 0
	.section	.AMDGPU.csdata,"",@progbits
; Kernel info:
; codeLenInByte = 132
; TotalNumSgprs: 20
; NumVgprs: 4
; ScratchSize: 0
; MemoryBound: 0
; FloatMode: 240
; IeeeMode: 1
; LDSByteSize: 0 bytes/workgroup (compile time only)
; SGPRBlocks: 2
; VGPRBlocks: 0
; NumSGPRsForWavesPerEU: 20
; NumVGPRsForWavesPerEU: 4
; Occupancy: 10
; WaveLimiterHint : 1
; COMPUTE_PGM_RSRC2:SCRATCH_EN: 0
; COMPUTE_PGM_RSRC2:USER_SGPR: 6
; COMPUTE_PGM_RSRC2:TRAP_HANDLER: 0
; COMPUTE_PGM_RSRC2:TGID_X_EN: 1
; COMPUTE_PGM_RSRC2:TGID_Y_EN: 0
; COMPUTE_PGM_RSRC2:TGID_Z_EN: 0
; COMPUTE_PGM_RSRC2:TIDIG_COMP_CNT: 0
	.section	.text._ZN9rocsparseL11gthr_kernelILj512EljEEvT0_PKT1_PS2_PKS1_21rocsparse_index_base_,"axG",@progbits,_ZN9rocsparseL11gthr_kernelILj512EljEEvT0_PKT1_PS2_PKS1_21rocsparse_index_base_,comdat
	.globl	_ZN9rocsparseL11gthr_kernelILj512EljEEvT0_PKT1_PS2_PKS1_21rocsparse_index_base_ ; -- Begin function _ZN9rocsparseL11gthr_kernelILj512EljEEvT0_PKT1_PS2_PKS1_21rocsparse_index_base_
	.p2align	8
	.type	_ZN9rocsparseL11gthr_kernelILj512EljEEvT0_PKT1_PS2_PKS1_21rocsparse_index_base_,@function
_ZN9rocsparseL11gthr_kernelILj512EljEEvT0_PKT1_PS2_PKS1_21rocsparse_index_base_: ; @_ZN9rocsparseL11gthr_kernelILj512EljEEvT0_PKT1_PS2_PKS1_21rocsparse_index_base_
; %bb.0:
	s_load_dwordx8 s[8:15], s[4:5], 0x0
	v_lshl_or_b32 v0, s6, 9, v0
	v_mov_b32_e32 v1, 0
	s_waitcnt lgkmcnt(0)
	v_cmp_gt_i64_e32 vcc, s[8:9], v[0:1]
	s_and_saveexec_b64 s[0:1], vcc
	s_cbranch_execz .LBB14_2
; %bb.1:
	v_lshlrev_b64 v[2:3], 3, v[0:1]
	v_mov_b32_e32 v4, s15
	v_add_co_u32_e32 v2, vcc, s14, v2
	v_addc_co_u32_e32 v3, vcc, v4, v3, vcc
	global_load_dwordx2 v[2:3], v[2:3], off
	s_load_dword s0, s[4:5], 0x20
	v_mov_b32_e32 v4, s11
	v_lshlrev_b64 v[0:1], 2, v[0:1]
	s_waitcnt vmcnt(0) lgkmcnt(0)
	v_subrev_co_u32_e32 v2, vcc, s0, v2
	v_subbrev_co_u32_e32 v3, vcc, 0, v3, vcc
	v_lshlrev_b64 v[2:3], 2, v[2:3]
	v_add_co_u32_e32 v2, vcc, s10, v2
	v_addc_co_u32_e32 v3, vcc, v4, v3, vcc
	global_load_dword v2, v[2:3], off
	v_mov_b32_e32 v3, s13
	v_add_co_u32_e32 v0, vcc, s12, v0
	v_addc_co_u32_e32 v1, vcc, v3, v1, vcc
	s_waitcnt vmcnt(0)
	global_store_dword v[0:1], v2, off
.LBB14_2:
	s_endpgm
	.section	.rodata,"a",@progbits
	.p2align	6, 0x0
	.amdhsa_kernel _ZN9rocsparseL11gthr_kernelILj512EljEEvT0_PKT1_PS2_PKS1_21rocsparse_index_base_
		.amdhsa_group_segment_fixed_size 0
		.amdhsa_private_segment_fixed_size 0
		.amdhsa_kernarg_size 36
		.amdhsa_user_sgpr_count 6
		.amdhsa_user_sgpr_private_segment_buffer 1
		.amdhsa_user_sgpr_dispatch_ptr 0
		.amdhsa_user_sgpr_queue_ptr 0
		.amdhsa_user_sgpr_kernarg_segment_ptr 1
		.amdhsa_user_sgpr_dispatch_id 0
		.amdhsa_user_sgpr_flat_scratch_init 0
		.amdhsa_user_sgpr_private_segment_size 0
		.amdhsa_uses_dynamic_stack 0
		.amdhsa_system_sgpr_private_segment_wavefront_offset 0
		.amdhsa_system_sgpr_workgroup_id_x 1
		.amdhsa_system_sgpr_workgroup_id_y 0
		.amdhsa_system_sgpr_workgroup_id_z 0
		.amdhsa_system_sgpr_workgroup_info 0
		.amdhsa_system_vgpr_workitem_id 0
		.amdhsa_next_free_vgpr 5
		.amdhsa_next_free_sgpr 16
		.amdhsa_reserve_vcc 1
		.amdhsa_reserve_flat_scratch 0
		.amdhsa_float_round_mode_32 0
		.amdhsa_float_round_mode_16_64 0
		.amdhsa_float_denorm_mode_32 3
		.amdhsa_float_denorm_mode_16_64 3
		.amdhsa_dx10_clamp 1
		.amdhsa_ieee_mode 1
		.amdhsa_fp16_overflow 0
		.amdhsa_exception_fp_ieee_invalid_op 0
		.amdhsa_exception_fp_denorm_src 0
		.amdhsa_exception_fp_ieee_div_zero 0
		.amdhsa_exception_fp_ieee_overflow 0
		.amdhsa_exception_fp_ieee_underflow 0
		.amdhsa_exception_fp_ieee_inexact 0
		.amdhsa_exception_int_div_zero 0
	.end_amdhsa_kernel
	.section	.text._ZN9rocsparseL11gthr_kernelILj512EljEEvT0_PKT1_PS2_PKS1_21rocsparse_index_base_,"axG",@progbits,_ZN9rocsparseL11gthr_kernelILj512EljEEvT0_PKT1_PS2_PKS1_21rocsparse_index_base_,comdat
.Lfunc_end14:
	.size	_ZN9rocsparseL11gthr_kernelILj512EljEEvT0_PKT1_PS2_PKS1_21rocsparse_index_base_, .Lfunc_end14-_ZN9rocsparseL11gthr_kernelILj512EljEEvT0_PKT1_PS2_PKS1_21rocsparse_index_base_
                                        ; -- End function
	.set _ZN9rocsparseL11gthr_kernelILj512EljEEvT0_PKT1_PS2_PKS1_21rocsparse_index_base_.num_vgpr, 5
	.set _ZN9rocsparseL11gthr_kernelILj512EljEEvT0_PKT1_PS2_PKS1_21rocsparse_index_base_.num_agpr, 0
	.set _ZN9rocsparseL11gthr_kernelILj512EljEEvT0_PKT1_PS2_PKS1_21rocsparse_index_base_.numbered_sgpr, 16
	.set _ZN9rocsparseL11gthr_kernelILj512EljEEvT0_PKT1_PS2_PKS1_21rocsparse_index_base_.num_named_barrier, 0
	.set _ZN9rocsparseL11gthr_kernelILj512EljEEvT0_PKT1_PS2_PKS1_21rocsparse_index_base_.private_seg_size, 0
	.set _ZN9rocsparseL11gthr_kernelILj512EljEEvT0_PKT1_PS2_PKS1_21rocsparse_index_base_.uses_vcc, 1
	.set _ZN9rocsparseL11gthr_kernelILj512EljEEvT0_PKT1_PS2_PKS1_21rocsparse_index_base_.uses_flat_scratch, 0
	.set _ZN9rocsparseL11gthr_kernelILj512EljEEvT0_PKT1_PS2_PKS1_21rocsparse_index_base_.has_dyn_sized_stack, 0
	.set _ZN9rocsparseL11gthr_kernelILj512EljEEvT0_PKT1_PS2_PKS1_21rocsparse_index_base_.has_recursion, 0
	.set _ZN9rocsparseL11gthr_kernelILj512EljEEvT0_PKT1_PS2_PKS1_21rocsparse_index_base_.has_indirect_call, 0
	.section	.AMDGPU.csdata,"",@progbits
; Kernel info:
; codeLenInByte = 148
; TotalNumSgprs: 20
; NumVgprs: 5
; ScratchSize: 0
; MemoryBound: 0
; FloatMode: 240
; IeeeMode: 1
; LDSByteSize: 0 bytes/workgroup (compile time only)
; SGPRBlocks: 2
; VGPRBlocks: 1
; NumSGPRsForWavesPerEU: 20
; NumVGPRsForWavesPerEU: 5
; Occupancy: 10
; WaveLimiterHint : 1
; COMPUTE_PGM_RSRC2:SCRATCH_EN: 0
; COMPUTE_PGM_RSRC2:USER_SGPR: 6
; COMPUTE_PGM_RSRC2:TRAP_HANDLER: 0
; COMPUTE_PGM_RSRC2:TGID_X_EN: 1
; COMPUTE_PGM_RSRC2:TGID_Y_EN: 0
; COMPUTE_PGM_RSRC2:TGID_Z_EN: 0
; COMPUTE_PGM_RSRC2:TIDIG_COMP_CNT: 0
	.section	.text._ZN9rocsparseL11gthr_kernelILj512EllEEvT0_PKT1_PS2_PKS1_21rocsparse_index_base_,"axG",@progbits,_ZN9rocsparseL11gthr_kernelILj512EllEEvT0_PKT1_PS2_PKS1_21rocsparse_index_base_,comdat
	.globl	_ZN9rocsparseL11gthr_kernelILj512EllEEvT0_PKT1_PS2_PKS1_21rocsparse_index_base_ ; -- Begin function _ZN9rocsparseL11gthr_kernelILj512EllEEvT0_PKT1_PS2_PKS1_21rocsparse_index_base_
	.p2align	8
	.type	_ZN9rocsparseL11gthr_kernelILj512EllEEvT0_PKT1_PS2_PKS1_21rocsparse_index_base_,@function
_ZN9rocsparseL11gthr_kernelILj512EllEEvT0_PKT1_PS2_PKS1_21rocsparse_index_base_: ; @_ZN9rocsparseL11gthr_kernelILj512EllEEvT0_PKT1_PS2_PKS1_21rocsparse_index_base_
; %bb.0:
	s_load_dwordx8 s[8:15], s[4:5], 0x0
	v_lshl_or_b32 v0, s6, 9, v0
	v_mov_b32_e32 v1, 0
	s_waitcnt lgkmcnt(0)
	v_cmp_gt_i64_e32 vcc, s[8:9], v[0:1]
	s_and_saveexec_b64 s[0:1], vcc
	s_cbranch_execz .LBB15_2
; %bb.1:
	v_lshlrev_b64 v[0:1], 3, v[0:1]
	v_mov_b32_e32 v3, s15
	v_add_co_u32_e32 v2, vcc, s14, v0
	v_addc_co_u32_e32 v3, vcc, v3, v1, vcc
	global_load_dwordx2 v[2:3], v[2:3], off
	s_load_dword s0, s[4:5], 0x20
	v_mov_b32_e32 v4, s11
	s_waitcnt vmcnt(0) lgkmcnt(0)
	v_subrev_co_u32_e32 v2, vcc, s0, v2
	v_subbrev_co_u32_e32 v3, vcc, 0, v3, vcc
	v_lshlrev_b64 v[2:3], 3, v[2:3]
	v_add_co_u32_e32 v2, vcc, s10, v2
	v_addc_co_u32_e32 v3, vcc, v4, v3, vcc
	global_load_dwordx2 v[2:3], v[2:3], off
	v_mov_b32_e32 v4, s13
	v_add_co_u32_e32 v0, vcc, s12, v0
	v_addc_co_u32_e32 v1, vcc, v4, v1, vcc
	s_waitcnt vmcnt(0)
	global_store_dwordx2 v[0:1], v[2:3], off
.LBB15_2:
	s_endpgm
	.section	.rodata,"a",@progbits
	.p2align	6, 0x0
	.amdhsa_kernel _ZN9rocsparseL11gthr_kernelILj512EllEEvT0_PKT1_PS2_PKS1_21rocsparse_index_base_
		.amdhsa_group_segment_fixed_size 0
		.amdhsa_private_segment_fixed_size 0
		.amdhsa_kernarg_size 36
		.amdhsa_user_sgpr_count 6
		.amdhsa_user_sgpr_private_segment_buffer 1
		.amdhsa_user_sgpr_dispatch_ptr 0
		.amdhsa_user_sgpr_queue_ptr 0
		.amdhsa_user_sgpr_kernarg_segment_ptr 1
		.amdhsa_user_sgpr_dispatch_id 0
		.amdhsa_user_sgpr_flat_scratch_init 0
		.amdhsa_user_sgpr_private_segment_size 0
		.amdhsa_uses_dynamic_stack 0
		.amdhsa_system_sgpr_private_segment_wavefront_offset 0
		.amdhsa_system_sgpr_workgroup_id_x 1
		.amdhsa_system_sgpr_workgroup_id_y 0
		.amdhsa_system_sgpr_workgroup_id_z 0
		.amdhsa_system_sgpr_workgroup_info 0
		.amdhsa_system_vgpr_workitem_id 0
		.amdhsa_next_free_vgpr 5
		.amdhsa_next_free_sgpr 16
		.amdhsa_reserve_vcc 1
		.amdhsa_reserve_flat_scratch 0
		.amdhsa_float_round_mode_32 0
		.amdhsa_float_round_mode_16_64 0
		.amdhsa_float_denorm_mode_32 3
		.amdhsa_float_denorm_mode_16_64 3
		.amdhsa_dx10_clamp 1
		.amdhsa_ieee_mode 1
		.amdhsa_fp16_overflow 0
		.amdhsa_exception_fp_ieee_invalid_op 0
		.amdhsa_exception_fp_denorm_src 0
		.amdhsa_exception_fp_ieee_div_zero 0
		.amdhsa_exception_fp_ieee_overflow 0
		.amdhsa_exception_fp_ieee_underflow 0
		.amdhsa_exception_fp_ieee_inexact 0
		.amdhsa_exception_int_div_zero 0
	.end_amdhsa_kernel
	.section	.text._ZN9rocsparseL11gthr_kernelILj512EllEEvT0_PKT1_PS2_PKS1_21rocsparse_index_base_,"axG",@progbits,_ZN9rocsparseL11gthr_kernelILj512EllEEvT0_PKT1_PS2_PKS1_21rocsparse_index_base_,comdat
.Lfunc_end15:
	.size	_ZN9rocsparseL11gthr_kernelILj512EllEEvT0_PKT1_PS2_PKS1_21rocsparse_index_base_, .Lfunc_end15-_ZN9rocsparseL11gthr_kernelILj512EllEEvT0_PKT1_PS2_PKS1_21rocsparse_index_base_
                                        ; -- End function
	.set _ZN9rocsparseL11gthr_kernelILj512EllEEvT0_PKT1_PS2_PKS1_21rocsparse_index_base_.num_vgpr, 5
	.set _ZN9rocsparseL11gthr_kernelILj512EllEEvT0_PKT1_PS2_PKS1_21rocsparse_index_base_.num_agpr, 0
	.set _ZN9rocsparseL11gthr_kernelILj512EllEEvT0_PKT1_PS2_PKS1_21rocsparse_index_base_.numbered_sgpr, 16
	.set _ZN9rocsparseL11gthr_kernelILj512EllEEvT0_PKT1_PS2_PKS1_21rocsparse_index_base_.num_named_barrier, 0
	.set _ZN9rocsparseL11gthr_kernelILj512EllEEvT0_PKT1_PS2_PKS1_21rocsparse_index_base_.private_seg_size, 0
	.set _ZN9rocsparseL11gthr_kernelILj512EllEEvT0_PKT1_PS2_PKS1_21rocsparse_index_base_.uses_vcc, 1
	.set _ZN9rocsparseL11gthr_kernelILj512EllEEvT0_PKT1_PS2_PKS1_21rocsparse_index_base_.uses_flat_scratch, 0
	.set _ZN9rocsparseL11gthr_kernelILj512EllEEvT0_PKT1_PS2_PKS1_21rocsparse_index_base_.has_dyn_sized_stack, 0
	.set _ZN9rocsparseL11gthr_kernelILj512EllEEvT0_PKT1_PS2_PKS1_21rocsparse_index_base_.has_recursion, 0
	.set _ZN9rocsparseL11gthr_kernelILj512EllEEvT0_PKT1_PS2_PKS1_21rocsparse_index_base_.has_indirect_call, 0
	.section	.AMDGPU.csdata,"",@progbits
; Kernel info:
; codeLenInByte = 140
; TotalNumSgprs: 20
; NumVgprs: 5
; ScratchSize: 0
; MemoryBound: 0
; FloatMode: 240
; IeeeMode: 1
; LDSByteSize: 0 bytes/workgroup (compile time only)
; SGPRBlocks: 2
; VGPRBlocks: 1
; NumSGPRsForWavesPerEU: 20
; NumVGPRsForWavesPerEU: 5
; Occupancy: 10
; WaveLimiterHint : 1
; COMPUTE_PGM_RSRC2:SCRATCH_EN: 0
; COMPUTE_PGM_RSRC2:USER_SGPR: 6
; COMPUTE_PGM_RSRC2:TRAP_HANDLER: 0
; COMPUTE_PGM_RSRC2:TGID_X_EN: 1
; COMPUTE_PGM_RSRC2:TGID_Y_EN: 0
; COMPUTE_PGM_RSRC2:TGID_Z_EN: 0
; COMPUTE_PGM_RSRC2:TIDIG_COMP_CNT: 0
	.section	.text._ZN9rocsparseL11gthr_kernelILj512ElDF16_EEvT0_PKT1_PS2_PKS1_21rocsparse_index_base_,"axG",@progbits,_ZN9rocsparseL11gthr_kernelILj512ElDF16_EEvT0_PKT1_PS2_PKS1_21rocsparse_index_base_,comdat
	.globl	_ZN9rocsparseL11gthr_kernelILj512ElDF16_EEvT0_PKT1_PS2_PKS1_21rocsparse_index_base_ ; -- Begin function _ZN9rocsparseL11gthr_kernelILj512ElDF16_EEvT0_PKT1_PS2_PKS1_21rocsparse_index_base_
	.p2align	8
	.type	_ZN9rocsparseL11gthr_kernelILj512ElDF16_EEvT0_PKT1_PS2_PKS1_21rocsparse_index_base_,@function
_ZN9rocsparseL11gthr_kernelILj512ElDF16_EEvT0_PKT1_PS2_PKS1_21rocsparse_index_base_: ; @_ZN9rocsparseL11gthr_kernelILj512ElDF16_EEvT0_PKT1_PS2_PKS1_21rocsparse_index_base_
; %bb.0:
	s_load_dwordx8 s[8:15], s[4:5], 0x0
	v_lshl_or_b32 v0, s6, 9, v0
	v_mov_b32_e32 v1, 0
	s_waitcnt lgkmcnt(0)
	v_cmp_gt_i64_e32 vcc, s[8:9], v[0:1]
	s_and_saveexec_b64 s[0:1], vcc
	s_cbranch_execz .LBB16_2
; %bb.1:
	v_lshlrev_b64 v[2:3], 3, v[0:1]
	v_mov_b32_e32 v4, s15
	v_add_co_u32_e32 v2, vcc, s14, v2
	v_addc_co_u32_e32 v3, vcc, v4, v3, vcc
	global_load_dwordx2 v[2:3], v[2:3], off
	s_load_dword s0, s[4:5], 0x20
	v_mov_b32_e32 v4, s11
	v_lshlrev_b64 v[0:1], 1, v[0:1]
	s_waitcnt vmcnt(0) lgkmcnt(0)
	v_subrev_co_u32_e32 v2, vcc, s0, v2
	v_subbrev_co_u32_e32 v3, vcc, 0, v3, vcc
	v_lshlrev_b64 v[2:3], 1, v[2:3]
	v_add_co_u32_e32 v2, vcc, s10, v2
	v_addc_co_u32_e32 v3, vcc, v4, v3, vcc
	global_load_ushort v2, v[2:3], off
	v_mov_b32_e32 v3, s13
	v_add_co_u32_e32 v0, vcc, s12, v0
	v_addc_co_u32_e32 v1, vcc, v3, v1, vcc
	s_waitcnt vmcnt(0)
	global_store_short v[0:1], v2, off
.LBB16_2:
	s_endpgm
	.section	.rodata,"a",@progbits
	.p2align	6, 0x0
	.amdhsa_kernel _ZN9rocsparseL11gthr_kernelILj512ElDF16_EEvT0_PKT1_PS2_PKS1_21rocsparse_index_base_
		.amdhsa_group_segment_fixed_size 0
		.amdhsa_private_segment_fixed_size 0
		.amdhsa_kernarg_size 36
		.amdhsa_user_sgpr_count 6
		.amdhsa_user_sgpr_private_segment_buffer 1
		.amdhsa_user_sgpr_dispatch_ptr 0
		.amdhsa_user_sgpr_queue_ptr 0
		.amdhsa_user_sgpr_kernarg_segment_ptr 1
		.amdhsa_user_sgpr_dispatch_id 0
		.amdhsa_user_sgpr_flat_scratch_init 0
		.amdhsa_user_sgpr_private_segment_size 0
		.amdhsa_uses_dynamic_stack 0
		.amdhsa_system_sgpr_private_segment_wavefront_offset 0
		.amdhsa_system_sgpr_workgroup_id_x 1
		.amdhsa_system_sgpr_workgroup_id_y 0
		.amdhsa_system_sgpr_workgroup_id_z 0
		.amdhsa_system_sgpr_workgroup_info 0
		.amdhsa_system_vgpr_workitem_id 0
		.amdhsa_next_free_vgpr 5
		.amdhsa_next_free_sgpr 16
		.amdhsa_reserve_vcc 1
		.amdhsa_reserve_flat_scratch 0
		.amdhsa_float_round_mode_32 0
		.amdhsa_float_round_mode_16_64 0
		.amdhsa_float_denorm_mode_32 3
		.amdhsa_float_denorm_mode_16_64 3
		.amdhsa_dx10_clamp 1
		.amdhsa_ieee_mode 1
		.amdhsa_fp16_overflow 0
		.amdhsa_exception_fp_ieee_invalid_op 0
		.amdhsa_exception_fp_denorm_src 0
		.amdhsa_exception_fp_ieee_div_zero 0
		.amdhsa_exception_fp_ieee_overflow 0
		.amdhsa_exception_fp_ieee_underflow 0
		.amdhsa_exception_fp_ieee_inexact 0
		.amdhsa_exception_int_div_zero 0
	.end_amdhsa_kernel
	.section	.text._ZN9rocsparseL11gthr_kernelILj512ElDF16_EEvT0_PKT1_PS2_PKS1_21rocsparse_index_base_,"axG",@progbits,_ZN9rocsparseL11gthr_kernelILj512ElDF16_EEvT0_PKT1_PS2_PKS1_21rocsparse_index_base_,comdat
.Lfunc_end16:
	.size	_ZN9rocsparseL11gthr_kernelILj512ElDF16_EEvT0_PKT1_PS2_PKS1_21rocsparse_index_base_, .Lfunc_end16-_ZN9rocsparseL11gthr_kernelILj512ElDF16_EEvT0_PKT1_PS2_PKS1_21rocsparse_index_base_
                                        ; -- End function
	.set _ZN9rocsparseL11gthr_kernelILj512ElDF16_EEvT0_PKT1_PS2_PKS1_21rocsparse_index_base_.num_vgpr, 5
	.set _ZN9rocsparseL11gthr_kernelILj512ElDF16_EEvT0_PKT1_PS2_PKS1_21rocsparse_index_base_.num_agpr, 0
	.set _ZN9rocsparseL11gthr_kernelILj512ElDF16_EEvT0_PKT1_PS2_PKS1_21rocsparse_index_base_.numbered_sgpr, 16
	.set _ZN9rocsparseL11gthr_kernelILj512ElDF16_EEvT0_PKT1_PS2_PKS1_21rocsparse_index_base_.num_named_barrier, 0
	.set _ZN9rocsparseL11gthr_kernelILj512ElDF16_EEvT0_PKT1_PS2_PKS1_21rocsparse_index_base_.private_seg_size, 0
	.set _ZN9rocsparseL11gthr_kernelILj512ElDF16_EEvT0_PKT1_PS2_PKS1_21rocsparse_index_base_.uses_vcc, 1
	.set _ZN9rocsparseL11gthr_kernelILj512ElDF16_EEvT0_PKT1_PS2_PKS1_21rocsparse_index_base_.uses_flat_scratch, 0
	.set _ZN9rocsparseL11gthr_kernelILj512ElDF16_EEvT0_PKT1_PS2_PKS1_21rocsparse_index_base_.has_dyn_sized_stack, 0
	.set _ZN9rocsparseL11gthr_kernelILj512ElDF16_EEvT0_PKT1_PS2_PKS1_21rocsparse_index_base_.has_recursion, 0
	.set _ZN9rocsparseL11gthr_kernelILj512ElDF16_EEvT0_PKT1_PS2_PKS1_21rocsparse_index_base_.has_indirect_call, 0
	.section	.AMDGPU.csdata,"",@progbits
; Kernel info:
; codeLenInByte = 148
; TotalNumSgprs: 20
; NumVgprs: 5
; ScratchSize: 0
; MemoryBound: 0
; FloatMode: 240
; IeeeMode: 1
; LDSByteSize: 0 bytes/workgroup (compile time only)
; SGPRBlocks: 2
; VGPRBlocks: 1
; NumSGPRsForWavesPerEU: 20
; NumVGPRsForWavesPerEU: 5
; Occupancy: 10
; WaveLimiterHint : 1
; COMPUTE_PGM_RSRC2:SCRATCH_EN: 0
; COMPUTE_PGM_RSRC2:USER_SGPR: 6
; COMPUTE_PGM_RSRC2:TRAP_HANDLER: 0
; COMPUTE_PGM_RSRC2:TGID_X_EN: 1
; COMPUTE_PGM_RSRC2:TGID_Y_EN: 0
; COMPUTE_PGM_RSRC2:TGID_Z_EN: 0
; COMPUTE_PGM_RSRC2:TIDIG_COMP_CNT: 0
	.section	.text._ZN9rocsparseL11gthr_kernelILj512El18rocsparse_bfloat16EEvT0_PKT1_PS3_PKS2_21rocsparse_index_base_,"axG",@progbits,_ZN9rocsparseL11gthr_kernelILj512El18rocsparse_bfloat16EEvT0_PKT1_PS3_PKS2_21rocsparse_index_base_,comdat
	.globl	_ZN9rocsparseL11gthr_kernelILj512El18rocsparse_bfloat16EEvT0_PKT1_PS3_PKS2_21rocsparse_index_base_ ; -- Begin function _ZN9rocsparseL11gthr_kernelILj512El18rocsparse_bfloat16EEvT0_PKT1_PS3_PKS2_21rocsparse_index_base_
	.p2align	8
	.type	_ZN9rocsparseL11gthr_kernelILj512El18rocsparse_bfloat16EEvT0_PKT1_PS3_PKS2_21rocsparse_index_base_,@function
_ZN9rocsparseL11gthr_kernelILj512El18rocsparse_bfloat16EEvT0_PKT1_PS3_PKS2_21rocsparse_index_base_: ; @_ZN9rocsparseL11gthr_kernelILj512El18rocsparse_bfloat16EEvT0_PKT1_PS3_PKS2_21rocsparse_index_base_
; %bb.0:
	s_load_dwordx8 s[8:15], s[4:5], 0x0
	v_lshl_or_b32 v0, s6, 9, v0
	v_mov_b32_e32 v1, 0
	s_waitcnt lgkmcnt(0)
	v_cmp_gt_i64_e32 vcc, s[8:9], v[0:1]
	s_and_saveexec_b64 s[0:1], vcc
	s_cbranch_execz .LBB17_2
; %bb.1:
	v_lshlrev_b64 v[2:3], 3, v[0:1]
	v_mov_b32_e32 v4, s15
	v_add_co_u32_e32 v2, vcc, s14, v2
	v_addc_co_u32_e32 v3, vcc, v4, v3, vcc
	global_load_dwordx2 v[2:3], v[2:3], off
	s_load_dword s0, s[4:5], 0x20
	v_mov_b32_e32 v4, s11
	v_lshlrev_b64 v[0:1], 1, v[0:1]
	s_waitcnt vmcnt(0) lgkmcnt(0)
	v_subrev_co_u32_e32 v2, vcc, s0, v2
	v_subbrev_co_u32_e32 v3, vcc, 0, v3, vcc
	v_lshlrev_b64 v[2:3], 1, v[2:3]
	v_add_co_u32_e32 v2, vcc, s10, v2
	v_addc_co_u32_e32 v3, vcc, v4, v3, vcc
	global_load_ushort v2, v[2:3], off
	v_mov_b32_e32 v3, s13
	v_add_co_u32_e32 v0, vcc, s12, v0
	v_addc_co_u32_e32 v1, vcc, v3, v1, vcc
	s_waitcnt vmcnt(0)
	global_store_short v[0:1], v2, off
.LBB17_2:
	s_endpgm
	.section	.rodata,"a",@progbits
	.p2align	6, 0x0
	.amdhsa_kernel _ZN9rocsparseL11gthr_kernelILj512El18rocsparse_bfloat16EEvT0_PKT1_PS3_PKS2_21rocsparse_index_base_
		.amdhsa_group_segment_fixed_size 0
		.amdhsa_private_segment_fixed_size 0
		.amdhsa_kernarg_size 36
		.amdhsa_user_sgpr_count 6
		.amdhsa_user_sgpr_private_segment_buffer 1
		.amdhsa_user_sgpr_dispatch_ptr 0
		.amdhsa_user_sgpr_queue_ptr 0
		.amdhsa_user_sgpr_kernarg_segment_ptr 1
		.amdhsa_user_sgpr_dispatch_id 0
		.amdhsa_user_sgpr_flat_scratch_init 0
		.amdhsa_user_sgpr_private_segment_size 0
		.amdhsa_uses_dynamic_stack 0
		.amdhsa_system_sgpr_private_segment_wavefront_offset 0
		.amdhsa_system_sgpr_workgroup_id_x 1
		.amdhsa_system_sgpr_workgroup_id_y 0
		.amdhsa_system_sgpr_workgroup_id_z 0
		.amdhsa_system_sgpr_workgroup_info 0
		.amdhsa_system_vgpr_workitem_id 0
		.amdhsa_next_free_vgpr 5
		.amdhsa_next_free_sgpr 16
		.amdhsa_reserve_vcc 1
		.amdhsa_reserve_flat_scratch 0
		.amdhsa_float_round_mode_32 0
		.amdhsa_float_round_mode_16_64 0
		.amdhsa_float_denorm_mode_32 3
		.amdhsa_float_denorm_mode_16_64 3
		.amdhsa_dx10_clamp 1
		.amdhsa_ieee_mode 1
		.amdhsa_fp16_overflow 0
		.amdhsa_exception_fp_ieee_invalid_op 0
		.amdhsa_exception_fp_denorm_src 0
		.amdhsa_exception_fp_ieee_div_zero 0
		.amdhsa_exception_fp_ieee_overflow 0
		.amdhsa_exception_fp_ieee_underflow 0
		.amdhsa_exception_fp_ieee_inexact 0
		.amdhsa_exception_int_div_zero 0
	.end_amdhsa_kernel
	.section	.text._ZN9rocsparseL11gthr_kernelILj512El18rocsparse_bfloat16EEvT0_PKT1_PS3_PKS2_21rocsparse_index_base_,"axG",@progbits,_ZN9rocsparseL11gthr_kernelILj512El18rocsparse_bfloat16EEvT0_PKT1_PS3_PKS2_21rocsparse_index_base_,comdat
.Lfunc_end17:
	.size	_ZN9rocsparseL11gthr_kernelILj512El18rocsparse_bfloat16EEvT0_PKT1_PS3_PKS2_21rocsparse_index_base_, .Lfunc_end17-_ZN9rocsparseL11gthr_kernelILj512El18rocsparse_bfloat16EEvT0_PKT1_PS3_PKS2_21rocsparse_index_base_
                                        ; -- End function
	.set _ZN9rocsparseL11gthr_kernelILj512El18rocsparse_bfloat16EEvT0_PKT1_PS3_PKS2_21rocsparse_index_base_.num_vgpr, 5
	.set _ZN9rocsparseL11gthr_kernelILj512El18rocsparse_bfloat16EEvT0_PKT1_PS3_PKS2_21rocsparse_index_base_.num_agpr, 0
	.set _ZN9rocsparseL11gthr_kernelILj512El18rocsparse_bfloat16EEvT0_PKT1_PS3_PKS2_21rocsparse_index_base_.numbered_sgpr, 16
	.set _ZN9rocsparseL11gthr_kernelILj512El18rocsparse_bfloat16EEvT0_PKT1_PS3_PKS2_21rocsparse_index_base_.num_named_barrier, 0
	.set _ZN9rocsparseL11gthr_kernelILj512El18rocsparse_bfloat16EEvT0_PKT1_PS3_PKS2_21rocsparse_index_base_.private_seg_size, 0
	.set _ZN9rocsparseL11gthr_kernelILj512El18rocsparse_bfloat16EEvT0_PKT1_PS3_PKS2_21rocsparse_index_base_.uses_vcc, 1
	.set _ZN9rocsparseL11gthr_kernelILj512El18rocsparse_bfloat16EEvT0_PKT1_PS3_PKS2_21rocsparse_index_base_.uses_flat_scratch, 0
	.set _ZN9rocsparseL11gthr_kernelILj512El18rocsparse_bfloat16EEvT0_PKT1_PS3_PKS2_21rocsparse_index_base_.has_dyn_sized_stack, 0
	.set _ZN9rocsparseL11gthr_kernelILj512El18rocsparse_bfloat16EEvT0_PKT1_PS3_PKS2_21rocsparse_index_base_.has_recursion, 0
	.set _ZN9rocsparseL11gthr_kernelILj512El18rocsparse_bfloat16EEvT0_PKT1_PS3_PKS2_21rocsparse_index_base_.has_indirect_call, 0
	.section	.AMDGPU.csdata,"",@progbits
; Kernel info:
; codeLenInByte = 148
; TotalNumSgprs: 20
; NumVgprs: 5
; ScratchSize: 0
; MemoryBound: 0
; FloatMode: 240
; IeeeMode: 1
; LDSByteSize: 0 bytes/workgroup (compile time only)
; SGPRBlocks: 2
; VGPRBlocks: 1
; NumSGPRsForWavesPerEU: 20
; NumVGPRsForWavesPerEU: 5
; Occupancy: 10
; WaveLimiterHint : 1
; COMPUTE_PGM_RSRC2:SCRATCH_EN: 0
; COMPUTE_PGM_RSRC2:USER_SGPR: 6
; COMPUTE_PGM_RSRC2:TRAP_HANDLER: 0
; COMPUTE_PGM_RSRC2:TGID_X_EN: 1
; COMPUTE_PGM_RSRC2:TGID_Y_EN: 0
; COMPUTE_PGM_RSRC2:TGID_Z_EN: 0
; COMPUTE_PGM_RSRC2:TIDIG_COMP_CNT: 0
	.section	.text._ZN9rocsparseL11gthr_kernelILj512ElfEEvT0_PKT1_PS2_PKS1_21rocsparse_index_base_,"axG",@progbits,_ZN9rocsparseL11gthr_kernelILj512ElfEEvT0_PKT1_PS2_PKS1_21rocsparse_index_base_,comdat
	.globl	_ZN9rocsparseL11gthr_kernelILj512ElfEEvT0_PKT1_PS2_PKS1_21rocsparse_index_base_ ; -- Begin function _ZN9rocsparseL11gthr_kernelILj512ElfEEvT0_PKT1_PS2_PKS1_21rocsparse_index_base_
	.p2align	8
	.type	_ZN9rocsparseL11gthr_kernelILj512ElfEEvT0_PKT1_PS2_PKS1_21rocsparse_index_base_,@function
_ZN9rocsparseL11gthr_kernelILj512ElfEEvT0_PKT1_PS2_PKS1_21rocsparse_index_base_: ; @_ZN9rocsparseL11gthr_kernelILj512ElfEEvT0_PKT1_PS2_PKS1_21rocsparse_index_base_
; %bb.0:
	s_load_dwordx8 s[8:15], s[4:5], 0x0
	v_lshl_or_b32 v0, s6, 9, v0
	v_mov_b32_e32 v1, 0
	s_waitcnt lgkmcnt(0)
	v_cmp_gt_i64_e32 vcc, s[8:9], v[0:1]
	s_and_saveexec_b64 s[0:1], vcc
	s_cbranch_execz .LBB18_2
; %bb.1:
	v_lshlrev_b64 v[2:3], 3, v[0:1]
	v_mov_b32_e32 v4, s15
	v_add_co_u32_e32 v2, vcc, s14, v2
	v_addc_co_u32_e32 v3, vcc, v4, v3, vcc
	global_load_dwordx2 v[2:3], v[2:3], off
	s_load_dword s0, s[4:5], 0x20
	v_mov_b32_e32 v4, s11
	v_lshlrev_b64 v[0:1], 2, v[0:1]
	s_waitcnt vmcnt(0) lgkmcnt(0)
	v_subrev_co_u32_e32 v2, vcc, s0, v2
	v_subbrev_co_u32_e32 v3, vcc, 0, v3, vcc
	v_lshlrev_b64 v[2:3], 2, v[2:3]
	v_add_co_u32_e32 v2, vcc, s10, v2
	v_addc_co_u32_e32 v3, vcc, v4, v3, vcc
	global_load_dword v2, v[2:3], off
	v_mov_b32_e32 v3, s13
	v_add_co_u32_e32 v0, vcc, s12, v0
	v_addc_co_u32_e32 v1, vcc, v3, v1, vcc
	s_waitcnt vmcnt(0)
	global_store_dword v[0:1], v2, off
.LBB18_2:
	s_endpgm
	.section	.rodata,"a",@progbits
	.p2align	6, 0x0
	.amdhsa_kernel _ZN9rocsparseL11gthr_kernelILj512ElfEEvT0_PKT1_PS2_PKS1_21rocsparse_index_base_
		.amdhsa_group_segment_fixed_size 0
		.amdhsa_private_segment_fixed_size 0
		.amdhsa_kernarg_size 36
		.amdhsa_user_sgpr_count 6
		.amdhsa_user_sgpr_private_segment_buffer 1
		.amdhsa_user_sgpr_dispatch_ptr 0
		.amdhsa_user_sgpr_queue_ptr 0
		.amdhsa_user_sgpr_kernarg_segment_ptr 1
		.amdhsa_user_sgpr_dispatch_id 0
		.amdhsa_user_sgpr_flat_scratch_init 0
		.amdhsa_user_sgpr_private_segment_size 0
		.amdhsa_uses_dynamic_stack 0
		.amdhsa_system_sgpr_private_segment_wavefront_offset 0
		.amdhsa_system_sgpr_workgroup_id_x 1
		.amdhsa_system_sgpr_workgroup_id_y 0
		.amdhsa_system_sgpr_workgroup_id_z 0
		.amdhsa_system_sgpr_workgroup_info 0
		.amdhsa_system_vgpr_workitem_id 0
		.amdhsa_next_free_vgpr 5
		.amdhsa_next_free_sgpr 16
		.amdhsa_reserve_vcc 1
		.amdhsa_reserve_flat_scratch 0
		.amdhsa_float_round_mode_32 0
		.amdhsa_float_round_mode_16_64 0
		.amdhsa_float_denorm_mode_32 3
		.amdhsa_float_denorm_mode_16_64 3
		.amdhsa_dx10_clamp 1
		.amdhsa_ieee_mode 1
		.amdhsa_fp16_overflow 0
		.amdhsa_exception_fp_ieee_invalid_op 0
		.amdhsa_exception_fp_denorm_src 0
		.amdhsa_exception_fp_ieee_div_zero 0
		.amdhsa_exception_fp_ieee_overflow 0
		.amdhsa_exception_fp_ieee_underflow 0
		.amdhsa_exception_fp_ieee_inexact 0
		.amdhsa_exception_int_div_zero 0
	.end_amdhsa_kernel
	.section	.text._ZN9rocsparseL11gthr_kernelILj512ElfEEvT0_PKT1_PS2_PKS1_21rocsparse_index_base_,"axG",@progbits,_ZN9rocsparseL11gthr_kernelILj512ElfEEvT0_PKT1_PS2_PKS1_21rocsparse_index_base_,comdat
.Lfunc_end18:
	.size	_ZN9rocsparseL11gthr_kernelILj512ElfEEvT0_PKT1_PS2_PKS1_21rocsparse_index_base_, .Lfunc_end18-_ZN9rocsparseL11gthr_kernelILj512ElfEEvT0_PKT1_PS2_PKS1_21rocsparse_index_base_
                                        ; -- End function
	.set _ZN9rocsparseL11gthr_kernelILj512ElfEEvT0_PKT1_PS2_PKS1_21rocsparse_index_base_.num_vgpr, 5
	.set _ZN9rocsparseL11gthr_kernelILj512ElfEEvT0_PKT1_PS2_PKS1_21rocsparse_index_base_.num_agpr, 0
	.set _ZN9rocsparseL11gthr_kernelILj512ElfEEvT0_PKT1_PS2_PKS1_21rocsparse_index_base_.numbered_sgpr, 16
	.set _ZN9rocsparseL11gthr_kernelILj512ElfEEvT0_PKT1_PS2_PKS1_21rocsparse_index_base_.num_named_barrier, 0
	.set _ZN9rocsparseL11gthr_kernelILj512ElfEEvT0_PKT1_PS2_PKS1_21rocsparse_index_base_.private_seg_size, 0
	.set _ZN9rocsparseL11gthr_kernelILj512ElfEEvT0_PKT1_PS2_PKS1_21rocsparse_index_base_.uses_vcc, 1
	.set _ZN9rocsparseL11gthr_kernelILj512ElfEEvT0_PKT1_PS2_PKS1_21rocsparse_index_base_.uses_flat_scratch, 0
	.set _ZN9rocsparseL11gthr_kernelILj512ElfEEvT0_PKT1_PS2_PKS1_21rocsparse_index_base_.has_dyn_sized_stack, 0
	.set _ZN9rocsparseL11gthr_kernelILj512ElfEEvT0_PKT1_PS2_PKS1_21rocsparse_index_base_.has_recursion, 0
	.set _ZN9rocsparseL11gthr_kernelILj512ElfEEvT0_PKT1_PS2_PKS1_21rocsparse_index_base_.has_indirect_call, 0
	.section	.AMDGPU.csdata,"",@progbits
; Kernel info:
; codeLenInByte = 148
; TotalNumSgprs: 20
; NumVgprs: 5
; ScratchSize: 0
; MemoryBound: 0
; FloatMode: 240
; IeeeMode: 1
; LDSByteSize: 0 bytes/workgroup (compile time only)
; SGPRBlocks: 2
; VGPRBlocks: 1
; NumSGPRsForWavesPerEU: 20
; NumVGPRsForWavesPerEU: 5
; Occupancy: 10
; WaveLimiterHint : 1
; COMPUTE_PGM_RSRC2:SCRATCH_EN: 0
; COMPUTE_PGM_RSRC2:USER_SGPR: 6
; COMPUTE_PGM_RSRC2:TRAP_HANDLER: 0
; COMPUTE_PGM_RSRC2:TGID_X_EN: 1
; COMPUTE_PGM_RSRC2:TGID_Y_EN: 0
; COMPUTE_PGM_RSRC2:TGID_Z_EN: 0
; COMPUTE_PGM_RSRC2:TIDIG_COMP_CNT: 0
	.section	.text._ZN9rocsparseL11gthr_kernelILj512EldEEvT0_PKT1_PS2_PKS1_21rocsparse_index_base_,"axG",@progbits,_ZN9rocsparseL11gthr_kernelILj512EldEEvT0_PKT1_PS2_PKS1_21rocsparse_index_base_,comdat
	.globl	_ZN9rocsparseL11gthr_kernelILj512EldEEvT0_PKT1_PS2_PKS1_21rocsparse_index_base_ ; -- Begin function _ZN9rocsparseL11gthr_kernelILj512EldEEvT0_PKT1_PS2_PKS1_21rocsparse_index_base_
	.p2align	8
	.type	_ZN9rocsparseL11gthr_kernelILj512EldEEvT0_PKT1_PS2_PKS1_21rocsparse_index_base_,@function
_ZN9rocsparseL11gthr_kernelILj512EldEEvT0_PKT1_PS2_PKS1_21rocsparse_index_base_: ; @_ZN9rocsparseL11gthr_kernelILj512EldEEvT0_PKT1_PS2_PKS1_21rocsparse_index_base_
; %bb.0:
	s_load_dwordx8 s[8:15], s[4:5], 0x0
	v_lshl_or_b32 v0, s6, 9, v0
	v_mov_b32_e32 v1, 0
	s_waitcnt lgkmcnt(0)
	v_cmp_gt_i64_e32 vcc, s[8:9], v[0:1]
	s_and_saveexec_b64 s[0:1], vcc
	s_cbranch_execz .LBB19_2
; %bb.1:
	v_lshlrev_b64 v[0:1], 3, v[0:1]
	v_mov_b32_e32 v3, s15
	v_add_co_u32_e32 v2, vcc, s14, v0
	v_addc_co_u32_e32 v3, vcc, v3, v1, vcc
	global_load_dwordx2 v[2:3], v[2:3], off
	s_load_dword s0, s[4:5], 0x20
	v_mov_b32_e32 v4, s11
	s_waitcnt vmcnt(0) lgkmcnt(0)
	v_subrev_co_u32_e32 v2, vcc, s0, v2
	v_subbrev_co_u32_e32 v3, vcc, 0, v3, vcc
	v_lshlrev_b64 v[2:3], 3, v[2:3]
	v_add_co_u32_e32 v2, vcc, s10, v2
	v_addc_co_u32_e32 v3, vcc, v4, v3, vcc
	global_load_dwordx2 v[2:3], v[2:3], off
	v_mov_b32_e32 v4, s13
	v_add_co_u32_e32 v0, vcc, s12, v0
	v_addc_co_u32_e32 v1, vcc, v4, v1, vcc
	s_waitcnt vmcnt(0)
	global_store_dwordx2 v[0:1], v[2:3], off
.LBB19_2:
	s_endpgm
	.section	.rodata,"a",@progbits
	.p2align	6, 0x0
	.amdhsa_kernel _ZN9rocsparseL11gthr_kernelILj512EldEEvT0_PKT1_PS2_PKS1_21rocsparse_index_base_
		.amdhsa_group_segment_fixed_size 0
		.amdhsa_private_segment_fixed_size 0
		.amdhsa_kernarg_size 36
		.amdhsa_user_sgpr_count 6
		.amdhsa_user_sgpr_private_segment_buffer 1
		.amdhsa_user_sgpr_dispatch_ptr 0
		.amdhsa_user_sgpr_queue_ptr 0
		.amdhsa_user_sgpr_kernarg_segment_ptr 1
		.amdhsa_user_sgpr_dispatch_id 0
		.amdhsa_user_sgpr_flat_scratch_init 0
		.amdhsa_user_sgpr_private_segment_size 0
		.amdhsa_uses_dynamic_stack 0
		.amdhsa_system_sgpr_private_segment_wavefront_offset 0
		.amdhsa_system_sgpr_workgroup_id_x 1
		.amdhsa_system_sgpr_workgroup_id_y 0
		.amdhsa_system_sgpr_workgroup_id_z 0
		.amdhsa_system_sgpr_workgroup_info 0
		.amdhsa_system_vgpr_workitem_id 0
		.amdhsa_next_free_vgpr 5
		.amdhsa_next_free_sgpr 16
		.amdhsa_reserve_vcc 1
		.amdhsa_reserve_flat_scratch 0
		.amdhsa_float_round_mode_32 0
		.amdhsa_float_round_mode_16_64 0
		.amdhsa_float_denorm_mode_32 3
		.amdhsa_float_denorm_mode_16_64 3
		.amdhsa_dx10_clamp 1
		.amdhsa_ieee_mode 1
		.amdhsa_fp16_overflow 0
		.amdhsa_exception_fp_ieee_invalid_op 0
		.amdhsa_exception_fp_denorm_src 0
		.amdhsa_exception_fp_ieee_div_zero 0
		.amdhsa_exception_fp_ieee_overflow 0
		.amdhsa_exception_fp_ieee_underflow 0
		.amdhsa_exception_fp_ieee_inexact 0
		.amdhsa_exception_int_div_zero 0
	.end_amdhsa_kernel
	.section	.text._ZN9rocsparseL11gthr_kernelILj512EldEEvT0_PKT1_PS2_PKS1_21rocsparse_index_base_,"axG",@progbits,_ZN9rocsparseL11gthr_kernelILj512EldEEvT0_PKT1_PS2_PKS1_21rocsparse_index_base_,comdat
.Lfunc_end19:
	.size	_ZN9rocsparseL11gthr_kernelILj512EldEEvT0_PKT1_PS2_PKS1_21rocsparse_index_base_, .Lfunc_end19-_ZN9rocsparseL11gthr_kernelILj512EldEEvT0_PKT1_PS2_PKS1_21rocsparse_index_base_
                                        ; -- End function
	.set _ZN9rocsparseL11gthr_kernelILj512EldEEvT0_PKT1_PS2_PKS1_21rocsparse_index_base_.num_vgpr, 5
	.set _ZN9rocsparseL11gthr_kernelILj512EldEEvT0_PKT1_PS2_PKS1_21rocsparse_index_base_.num_agpr, 0
	.set _ZN9rocsparseL11gthr_kernelILj512EldEEvT0_PKT1_PS2_PKS1_21rocsparse_index_base_.numbered_sgpr, 16
	.set _ZN9rocsparseL11gthr_kernelILj512EldEEvT0_PKT1_PS2_PKS1_21rocsparse_index_base_.num_named_barrier, 0
	.set _ZN9rocsparseL11gthr_kernelILj512EldEEvT0_PKT1_PS2_PKS1_21rocsparse_index_base_.private_seg_size, 0
	.set _ZN9rocsparseL11gthr_kernelILj512EldEEvT0_PKT1_PS2_PKS1_21rocsparse_index_base_.uses_vcc, 1
	.set _ZN9rocsparseL11gthr_kernelILj512EldEEvT0_PKT1_PS2_PKS1_21rocsparse_index_base_.uses_flat_scratch, 0
	.set _ZN9rocsparseL11gthr_kernelILj512EldEEvT0_PKT1_PS2_PKS1_21rocsparse_index_base_.has_dyn_sized_stack, 0
	.set _ZN9rocsparseL11gthr_kernelILj512EldEEvT0_PKT1_PS2_PKS1_21rocsparse_index_base_.has_recursion, 0
	.set _ZN9rocsparseL11gthr_kernelILj512EldEEvT0_PKT1_PS2_PKS1_21rocsparse_index_base_.has_indirect_call, 0
	.section	.AMDGPU.csdata,"",@progbits
; Kernel info:
; codeLenInByte = 140
; TotalNumSgprs: 20
; NumVgprs: 5
; ScratchSize: 0
; MemoryBound: 0
; FloatMode: 240
; IeeeMode: 1
; LDSByteSize: 0 bytes/workgroup (compile time only)
; SGPRBlocks: 2
; VGPRBlocks: 1
; NumSGPRsForWavesPerEU: 20
; NumVGPRsForWavesPerEU: 5
; Occupancy: 10
; WaveLimiterHint : 1
; COMPUTE_PGM_RSRC2:SCRATCH_EN: 0
; COMPUTE_PGM_RSRC2:USER_SGPR: 6
; COMPUTE_PGM_RSRC2:TRAP_HANDLER: 0
; COMPUTE_PGM_RSRC2:TGID_X_EN: 1
; COMPUTE_PGM_RSRC2:TGID_Y_EN: 0
; COMPUTE_PGM_RSRC2:TGID_Z_EN: 0
; COMPUTE_PGM_RSRC2:TIDIG_COMP_CNT: 0
	.section	.text._ZN9rocsparseL11gthr_kernelILj512El21rocsparse_complex_numIfEEEvT0_PKT1_PS4_PKS3_21rocsparse_index_base_,"axG",@progbits,_ZN9rocsparseL11gthr_kernelILj512El21rocsparse_complex_numIfEEEvT0_PKT1_PS4_PKS3_21rocsparse_index_base_,comdat
	.globl	_ZN9rocsparseL11gthr_kernelILj512El21rocsparse_complex_numIfEEEvT0_PKT1_PS4_PKS3_21rocsparse_index_base_ ; -- Begin function _ZN9rocsparseL11gthr_kernelILj512El21rocsparse_complex_numIfEEEvT0_PKT1_PS4_PKS3_21rocsparse_index_base_
	.p2align	8
	.type	_ZN9rocsparseL11gthr_kernelILj512El21rocsparse_complex_numIfEEEvT0_PKT1_PS4_PKS3_21rocsparse_index_base_,@function
_ZN9rocsparseL11gthr_kernelILj512El21rocsparse_complex_numIfEEEvT0_PKT1_PS4_PKS3_21rocsparse_index_base_: ; @_ZN9rocsparseL11gthr_kernelILj512El21rocsparse_complex_numIfEEEvT0_PKT1_PS4_PKS3_21rocsparse_index_base_
; %bb.0:
	s_load_dwordx8 s[8:15], s[4:5], 0x0
	v_lshl_or_b32 v0, s6, 9, v0
	v_mov_b32_e32 v1, 0
	s_waitcnt lgkmcnt(0)
	v_cmp_gt_i64_e32 vcc, s[8:9], v[0:1]
	s_and_saveexec_b64 s[0:1], vcc
	s_cbranch_execz .LBB20_2
; %bb.1:
	v_lshlrev_b64 v[0:1], 3, v[0:1]
	v_mov_b32_e32 v3, s15
	v_add_co_u32_e32 v2, vcc, s14, v0
	v_addc_co_u32_e32 v3, vcc, v3, v1, vcc
	global_load_dwordx2 v[2:3], v[2:3], off
	s_load_dword s0, s[4:5], 0x20
	v_mov_b32_e32 v4, s11
	s_waitcnt vmcnt(0) lgkmcnt(0)
	v_subrev_co_u32_e32 v2, vcc, s0, v2
	v_subbrev_co_u32_e32 v3, vcc, 0, v3, vcc
	v_lshlrev_b64 v[2:3], 3, v[2:3]
	v_add_co_u32_e32 v2, vcc, s10, v2
	v_addc_co_u32_e32 v3, vcc, v4, v3, vcc
	global_load_dwordx2 v[2:3], v[2:3], off
	v_mov_b32_e32 v4, s13
	v_add_co_u32_e32 v0, vcc, s12, v0
	v_addc_co_u32_e32 v1, vcc, v4, v1, vcc
	s_waitcnt vmcnt(0)
	global_store_dwordx2 v[0:1], v[2:3], off
.LBB20_2:
	s_endpgm
	.section	.rodata,"a",@progbits
	.p2align	6, 0x0
	.amdhsa_kernel _ZN9rocsparseL11gthr_kernelILj512El21rocsparse_complex_numIfEEEvT0_PKT1_PS4_PKS3_21rocsparse_index_base_
		.amdhsa_group_segment_fixed_size 0
		.amdhsa_private_segment_fixed_size 0
		.amdhsa_kernarg_size 36
		.amdhsa_user_sgpr_count 6
		.amdhsa_user_sgpr_private_segment_buffer 1
		.amdhsa_user_sgpr_dispatch_ptr 0
		.amdhsa_user_sgpr_queue_ptr 0
		.amdhsa_user_sgpr_kernarg_segment_ptr 1
		.amdhsa_user_sgpr_dispatch_id 0
		.amdhsa_user_sgpr_flat_scratch_init 0
		.amdhsa_user_sgpr_private_segment_size 0
		.amdhsa_uses_dynamic_stack 0
		.amdhsa_system_sgpr_private_segment_wavefront_offset 0
		.amdhsa_system_sgpr_workgroup_id_x 1
		.amdhsa_system_sgpr_workgroup_id_y 0
		.amdhsa_system_sgpr_workgroup_id_z 0
		.amdhsa_system_sgpr_workgroup_info 0
		.amdhsa_system_vgpr_workitem_id 0
		.amdhsa_next_free_vgpr 5
		.amdhsa_next_free_sgpr 16
		.amdhsa_reserve_vcc 1
		.amdhsa_reserve_flat_scratch 0
		.amdhsa_float_round_mode_32 0
		.amdhsa_float_round_mode_16_64 0
		.amdhsa_float_denorm_mode_32 3
		.amdhsa_float_denorm_mode_16_64 3
		.amdhsa_dx10_clamp 1
		.amdhsa_ieee_mode 1
		.amdhsa_fp16_overflow 0
		.amdhsa_exception_fp_ieee_invalid_op 0
		.amdhsa_exception_fp_denorm_src 0
		.amdhsa_exception_fp_ieee_div_zero 0
		.amdhsa_exception_fp_ieee_overflow 0
		.amdhsa_exception_fp_ieee_underflow 0
		.amdhsa_exception_fp_ieee_inexact 0
		.amdhsa_exception_int_div_zero 0
	.end_amdhsa_kernel
	.section	.text._ZN9rocsparseL11gthr_kernelILj512El21rocsparse_complex_numIfEEEvT0_PKT1_PS4_PKS3_21rocsparse_index_base_,"axG",@progbits,_ZN9rocsparseL11gthr_kernelILj512El21rocsparse_complex_numIfEEEvT0_PKT1_PS4_PKS3_21rocsparse_index_base_,comdat
.Lfunc_end20:
	.size	_ZN9rocsparseL11gthr_kernelILj512El21rocsparse_complex_numIfEEEvT0_PKT1_PS4_PKS3_21rocsparse_index_base_, .Lfunc_end20-_ZN9rocsparseL11gthr_kernelILj512El21rocsparse_complex_numIfEEEvT0_PKT1_PS4_PKS3_21rocsparse_index_base_
                                        ; -- End function
	.set _ZN9rocsparseL11gthr_kernelILj512El21rocsparse_complex_numIfEEEvT0_PKT1_PS4_PKS3_21rocsparse_index_base_.num_vgpr, 5
	.set _ZN9rocsparseL11gthr_kernelILj512El21rocsparse_complex_numIfEEEvT0_PKT1_PS4_PKS3_21rocsparse_index_base_.num_agpr, 0
	.set _ZN9rocsparseL11gthr_kernelILj512El21rocsparse_complex_numIfEEEvT0_PKT1_PS4_PKS3_21rocsparse_index_base_.numbered_sgpr, 16
	.set _ZN9rocsparseL11gthr_kernelILj512El21rocsparse_complex_numIfEEEvT0_PKT1_PS4_PKS3_21rocsparse_index_base_.num_named_barrier, 0
	.set _ZN9rocsparseL11gthr_kernelILj512El21rocsparse_complex_numIfEEEvT0_PKT1_PS4_PKS3_21rocsparse_index_base_.private_seg_size, 0
	.set _ZN9rocsparseL11gthr_kernelILj512El21rocsparse_complex_numIfEEEvT0_PKT1_PS4_PKS3_21rocsparse_index_base_.uses_vcc, 1
	.set _ZN9rocsparseL11gthr_kernelILj512El21rocsparse_complex_numIfEEEvT0_PKT1_PS4_PKS3_21rocsparse_index_base_.uses_flat_scratch, 0
	.set _ZN9rocsparseL11gthr_kernelILj512El21rocsparse_complex_numIfEEEvT0_PKT1_PS4_PKS3_21rocsparse_index_base_.has_dyn_sized_stack, 0
	.set _ZN9rocsparseL11gthr_kernelILj512El21rocsparse_complex_numIfEEEvT0_PKT1_PS4_PKS3_21rocsparse_index_base_.has_recursion, 0
	.set _ZN9rocsparseL11gthr_kernelILj512El21rocsparse_complex_numIfEEEvT0_PKT1_PS4_PKS3_21rocsparse_index_base_.has_indirect_call, 0
	.section	.AMDGPU.csdata,"",@progbits
; Kernel info:
; codeLenInByte = 140
; TotalNumSgprs: 20
; NumVgprs: 5
; ScratchSize: 0
; MemoryBound: 0
; FloatMode: 240
; IeeeMode: 1
; LDSByteSize: 0 bytes/workgroup (compile time only)
; SGPRBlocks: 2
; VGPRBlocks: 1
; NumSGPRsForWavesPerEU: 20
; NumVGPRsForWavesPerEU: 5
; Occupancy: 10
; WaveLimiterHint : 1
; COMPUTE_PGM_RSRC2:SCRATCH_EN: 0
; COMPUTE_PGM_RSRC2:USER_SGPR: 6
; COMPUTE_PGM_RSRC2:TRAP_HANDLER: 0
; COMPUTE_PGM_RSRC2:TGID_X_EN: 1
; COMPUTE_PGM_RSRC2:TGID_Y_EN: 0
; COMPUTE_PGM_RSRC2:TGID_Z_EN: 0
; COMPUTE_PGM_RSRC2:TIDIG_COMP_CNT: 0
	.section	.text._ZN9rocsparseL11gthr_kernelILj512El21rocsparse_complex_numIdEEEvT0_PKT1_PS4_PKS3_21rocsparse_index_base_,"axG",@progbits,_ZN9rocsparseL11gthr_kernelILj512El21rocsparse_complex_numIdEEEvT0_PKT1_PS4_PKS3_21rocsparse_index_base_,comdat
	.globl	_ZN9rocsparseL11gthr_kernelILj512El21rocsparse_complex_numIdEEEvT0_PKT1_PS4_PKS3_21rocsparse_index_base_ ; -- Begin function _ZN9rocsparseL11gthr_kernelILj512El21rocsparse_complex_numIdEEEvT0_PKT1_PS4_PKS3_21rocsparse_index_base_
	.p2align	8
	.type	_ZN9rocsparseL11gthr_kernelILj512El21rocsparse_complex_numIdEEEvT0_PKT1_PS4_PKS3_21rocsparse_index_base_,@function
_ZN9rocsparseL11gthr_kernelILj512El21rocsparse_complex_numIdEEEvT0_PKT1_PS4_PKS3_21rocsparse_index_base_: ; @_ZN9rocsparseL11gthr_kernelILj512El21rocsparse_complex_numIdEEEvT0_PKT1_PS4_PKS3_21rocsparse_index_base_
; %bb.0:
	s_load_dwordx8 s[8:15], s[4:5], 0x0
	v_lshl_or_b32 v0, s6, 9, v0
	v_mov_b32_e32 v1, 0
	s_waitcnt lgkmcnt(0)
	v_cmp_gt_i64_e32 vcc, s[8:9], v[0:1]
	s_and_saveexec_b64 s[0:1], vcc
	s_cbranch_execz .LBB21_2
; %bb.1:
	v_lshlrev_b64 v[2:3], 3, v[0:1]
	v_mov_b32_e32 v4, s15
	v_add_co_u32_e32 v2, vcc, s14, v2
	v_addc_co_u32_e32 v3, vcc, v4, v3, vcc
	global_load_dwordx2 v[2:3], v[2:3], off
	s_load_dword s0, s[4:5], 0x20
	v_mov_b32_e32 v4, s11
	v_lshlrev_b64 v[0:1], 4, v[0:1]
	v_mov_b32_e32 v6, s13
	s_waitcnt vmcnt(0) lgkmcnt(0)
	v_subrev_co_u32_e32 v2, vcc, s0, v2
	v_subbrev_co_u32_e32 v3, vcc, 0, v3, vcc
	v_lshlrev_b64 v[2:3], 4, v[2:3]
	v_add_co_u32_e32 v2, vcc, s10, v2
	v_addc_co_u32_e32 v3, vcc, v4, v3, vcc
	global_load_dwordx4 v[2:5], v[2:3], off
	v_add_co_u32_e32 v0, vcc, s12, v0
	v_addc_co_u32_e32 v1, vcc, v6, v1, vcc
	s_waitcnt vmcnt(0)
	global_store_dwordx4 v[0:1], v[2:5], off
.LBB21_2:
	s_endpgm
	.section	.rodata,"a",@progbits
	.p2align	6, 0x0
	.amdhsa_kernel _ZN9rocsparseL11gthr_kernelILj512El21rocsparse_complex_numIdEEEvT0_PKT1_PS4_PKS3_21rocsparse_index_base_
		.amdhsa_group_segment_fixed_size 0
		.amdhsa_private_segment_fixed_size 0
		.amdhsa_kernarg_size 36
		.amdhsa_user_sgpr_count 6
		.amdhsa_user_sgpr_private_segment_buffer 1
		.amdhsa_user_sgpr_dispatch_ptr 0
		.amdhsa_user_sgpr_queue_ptr 0
		.amdhsa_user_sgpr_kernarg_segment_ptr 1
		.amdhsa_user_sgpr_dispatch_id 0
		.amdhsa_user_sgpr_flat_scratch_init 0
		.amdhsa_user_sgpr_private_segment_size 0
		.amdhsa_uses_dynamic_stack 0
		.amdhsa_system_sgpr_private_segment_wavefront_offset 0
		.amdhsa_system_sgpr_workgroup_id_x 1
		.amdhsa_system_sgpr_workgroup_id_y 0
		.amdhsa_system_sgpr_workgroup_id_z 0
		.amdhsa_system_sgpr_workgroup_info 0
		.amdhsa_system_vgpr_workitem_id 0
		.amdhsa_next_free_vgpr 7
		.amdhsa_next_free_sgpr 16
		.amdhsa_reserve_vcc 1
		.amdhsa_reserve_flat_scratch 0
		.amdhsa_float_round_mode_32 0
		.amdhsa_float_round_mode_16_64 0
		.amdhsa_float_denorm_mode_32 3
		.amdhsa_float_denorm_mode_16_64 3
		.amdhsa_dx10_clamp 1
		.amdhsa_ieee_mode 1
		.amdhsa_fp16_overflow 0
		.amdhsa_exception_fp_ieee_invalid_op 0
		.amdhsa_exception_fp_denorm_src 0
		.amdhsa_exception_fp_ieee_div_zero 0
		.amdhsa_exception_fp_ieee_overflow 0
		.amdhsa_exception_fp_ieee_underflow 0
		.amdhsa_exception_fp_ieee_inexact 0
		.amdhsa_exception_int_div_zero 0
	.end_amdhsa_kernel
	.section	.text._ZN9rocsparseL11gthr_kernelILj512El21rocsparse_complex_numIdEEEvT0_PKT1_PS4_PKS3_21rocsparse_index_base_,"axG",@progbits,_ZN9rocsparseL11gthr_kernelILj512El21rocsparse_complex_numIdEEEvT0_PKT1_PS4_PKS3_21rocsparse_index_base_,comdat
.Lfunc_end21:
	.size	_ZN9rocsparseL11gthr_kernelILj512El21rocsparse_complex_numIdEEEvT0_PKT1_PS4_PKS3_21rocsparse_index_base_, .Lfunc_end21-_ZN9rocsparseL11gthr_kernelILj512El21rocsparse_complex_numIdEEEvT0_PKT1_PS4_PKS3_21rocsparse_index_base_
                                        ; -- End function
	.set _ZN9rocsparseL11gthr_kernelILj512El21rocsparse_complex_numIdEEEvT0_PKT1_PS4_PKS3_21rocsparse_index_base_.num_vgpr, 7
	.set _ZN9rocsparseL11gthr_kernelILj512El21rocsparse_complex_numIdEEEvT0_PKT1_PS4_PKS3_21rocsparse_index_base_.num_agpr, 0
	.set _ZN9rocsparseL11gthr_kernelILj512El21rocsparse_complex_numIdEEEvT0_PKT1_PS4_PKS3_21rocsparse_index_base_.numbered_sgpr, 16
	.set _ZN9rocsparseL11gthr_kernelILj512El21rocsparse_complex_numIdEEEvT0_PKT1_PS4_PKS3_21rocsparse_index_base_.num_named_barrier, 0
	.set _ZN9rocsparseL11gthr_kernelILj512El21rocsparse_complex_numIdEEEvT0_PKT1_PS4_PKS3_21rocsparse_index_base_.private_seg_size, 0
	.set _ZN9rocsparseL11gthr_kernelILj512El21rocsparse_complex_numIdEEEvT0_PKT1_PS4_PKS3_21rocsparse_index_base_.uses_vcc, 1
	.set _ZN9rocsparseL11gthr_kernelILj512El21rocsparse_complex_numIdEEEvT0_PKT1_PS4_PKS3_21rocsparse_index_base_.uses_flat_scratch, 0
	.set _ZN9rocsparseL11gthr_kernelILj512El21rocsparse_complex_numIdEEEvT0_PKT1_PS4_PKS3_21rocsparse_index_base_.has_dyn_sized_stack, 0
	.set _ZN9rocsparseL11gthr_kernelILj512El21rocsparse_complex_numIdEEEvT0_PKT1_PS4_PKS3_21rocsparse_index_base_.has_recursion, 0
	.set _ZN9rocsparseL11gthr_kernelILj512El21rocsparse_complex_numIdEEEvT0_PKT1_PS4_PKS3_21rocsparse_index_base_.has_indirect_call, 0
	.section	.AMDGPU.csdata,"",@progbits
; Kernel info:
; codeLenInByte = 148
; TotalNumSgprs: 20
; NumVgprs: 7
; ScratchSize: 0
; MemoryBound: 0
; FloatMode: 240
; IeeeMode: 1
; LDSByteSize: 0 bytes/workgroup (compile time only)
; SGPRBlocks: 2
; VGPRBlocks: 1
; NumSGPRsForWavesPerEU: 20
; NumVGPRsForWavesPerEU: 7
; Occupancy: 10
; WaveLimiterHint : 0
; COMPUTE_PGM_RSRC2:SCRATCH_EN: 0
; COMPUTE_PGM_RSRC2:USER_SGPR: 6
; COMPUTE_PGM_RSRC2:TRAP_HANDLER: 0
; COMPUTE_PGM_RSRC2:TGID_X_EN: 1
; COMPUTE_PGM_RSRC2:TGID_Y_EN: 0
; COMPUTE_PGM_RSRC2:TGID_Z_EN: 0
; COMPUTE_PGM_RSRC2:TIDIG_COMP_CNT: 0
	.section	.AMDGPU.gpr_maximums,"",@progbits
	.set amdgpu.max_num_vgpr, 0
	.set amdgpu.max_num_agpr, 0
	.set amdgpu.max_num_sgpr, 0
	.section	.AMDGPU.csdata,"",@progbits
	.type	__hip_cuid_3357f14fa26fd8b2,@object ; @__hip_cuid_3357f14fa26fd8b2
	.section	.bss,"aw",@nobits
	.globl	__hip_cuid_3357f14fa26fd8b2
__hip_cuid_3357f14fa26fd8b2:
	.byte	0                               ; 0x0
	.size	__hip_cuid_3357f14fa26fd8b2, 1

	.ident	"AMD clang version 22.0.0git (https://github.com/RadeonOpenCompute/llvm-project roc-7.2.4 26084 f58b06dce1f9c15707c5f808fd002e18c2accf7e)"
	.section	".note.GNU-stack","",@progbits
	.addrsig
	.addrsig_sym __hip_cuid_3357f14fa26fd8b2
	.amdgpu_metadata
---
amdhsa.kernels:
  - .args:
      - .offset:         0
        .size:           4
        .value_kind:     by_value
      - .address_space:  global
        .offset:         8
        .size:           8
        .value_kind:     global_buffer
      - .address_space:  global
        .offset:         16
        .size:           8
        .value_kind:     global_buffer
      - .address_space:  global
        .offset:         24
        .size:           8
        .value_kind:     global_buffer
      - .offset:         32
        .size:           4
        .value_kind:     by_value
    .group_segment_fixed_size: 0
    .kernarg_segment_align: 8
    .kernarg_segment_size: 36
    .language:       OpenCL C
    .language_version:
      - 2
      - 0
    .max_flat_workgroup_size: 512
    .name:           _ZN9rocsparseL11gthr_kernelILj512EihEEvT0_PKT1_PS2_PKS1_21rocsparse_index_base_
    .private_segment_fixed_size: 0
    .sgpr_count:     11
    .sgpr_spill_count: 0
    .symbol:         _ZN9rocsparseL11gthr_kernelILj512EihEEvT0_PKT1_PS2_PKS1_21rocsparse_index_base_.kd
    .uniform_work_group_size: 1
    .uses_dynamic_stack: false
    .vgpr_count:     5
    .vgpr_spill_count: 0
    .wavefront_size: 64
  - .args:
      - .offset:         0
        .size:           4
        .value_kind:     by_value
      - .address_space:  global
        .offset:         8
        .size:           8
        .value_kind:     global_buffer
      - .address_space:  global
        .offset:         16
        .size:           8
        .value_kind:     global_buffer
      - .address_space:  global
        .offset:         24
        .size:           8
        .value_kind:     global_buffer
      - .offset:         32
        .size:           4
        .value_kind:     by_value
    .group_segment_fixed_size: 0
    .kernarg_segment_align: 8
    .kernarg_segment_size: 36
    .language:       OpenCL C
    .language_version:
      - 2
      - 0
    .max_flat_workgroup_size: 512
    .name:           _ZN9rocsparseL11gthr_kernelILj512EijEEvT0_PKT1_PS2_PKS1_21rocsparse_index_base_
    .private_segment_fixed_size: 0
    .sgpr_count:     11
    .sgpr_spill_count: 0
    .symbol:         _ZN9rocsparseL11gthr_kernelILj512EijEEvT0_PKT1_PS2_PKS1_21rocsparse_index_base_.kd
    .uniform_work_group_size: 1
    .uses_dynamic_stack: false
    .vgpr_count:     5
    .vgpr_spill_count: 0
    .wavefront_size: 64
  - .args:
      - .offset:         0
        .size:           4
        .value_kind:     by_value
      - .address_space:  global
        .offset:         8
        .size:           8
        .value_kind:     global_buffer
      - .address_space:  global
        .offset:         16
        .size:           8
        .value_kind:     global_buffer
      - .address_space:  global
        .offset:         24
        .size:           8
        .value_kind:     global_buffer
      - .offset:         32
        .size:           4
        .value_kind:     by_value
    .group_segment_fixed_size: 0
    .kernarg_segment_align: 8
    .kernarg_segment_size: 36
    .language:       OpenCL C
    .language_version:
      - 2
      - 0
    .max_flat_workgroup_size: 512
    .name:           _ZN9rocsparseL11gthr_kernelILj512EiaEEvT0_PKT1_PS2_PKS1_21rocsparse_index_base_
    .private_segment_fixed_size: 0
    .sgpr_count:     11
    .sgpr_spill_count: 0
    .symbol:         _ZN9rocsparseL11gthr_kernelILj512EiaEEvT0_PKT1_PS2_PKS1_21rocsparse_index_base_.kd
    .uniform_work_group_size: 1
    .uses_dynamic_stack: false
    .vgpr_count:     5
    .vgpr_spill_count: 0
    .wavefront_size: 64
  - .args:
      - .offset:         0
        .size:           4
        .value_kind:     by_value
      - .address_space:  global
        .offset:         8
        .size:           8
        .value_kind:     global_buffer
      - .address_space:  global
        .offset:         16
        .size:           8
        .value_kind:     global_buffer
      - .address_space:  global
        .offset:         24
        .size:           8
        .value_kind:     global_buffer
      - .offset:         32
        .size:           4
        .value_kind:     by_value
    .group_segment_fixed_size: 0
    .kernarg_segment_align: 8
    .kernarg_segment_size: 36
    .language:       OpenCL C
    .language_version:
      - 2
      - 0
    .max_flat_workgroup_size: 512
    .name:           _ZN9rocsparseL11gthr_kernelILj512EiiEEvT0_PKT1_PS2_PKS1_21rocsparse_index_base_
    .private_segment_fixed_size: 0
    .sgpr_count:     11
    .sgpr_spill_count: 0
    .symbol:         _ZN9rocsparseL11gthr_kernelILj512EiiEEvT0_PKT1_PS2_PKS1_21rocsparse_index_base_.kd
    .uniform_work_group_size: 1
    .uses_dynamic_stack: false
    .vgpr_count:     5
    .vgpr_spill_count: 0
    .wavefront_size: 64
  - .args:
      - .offset:         0
        .size:           4
        .value_kind:     by_value
      - .address_space:  global
        .offset:         8
        .size:           8
        .value_kind:     global_buffer
      - .address_space:  global
        .offset:         16
        .size:           8
        .value_kind:     global_buffer
      - .address_space:  global
        .offset:         24
        .size:           8
        .value_kind:     global_buffer
      - .offset:         32
        .size:           4
        .value_kind:     by_value
    .group_segment_fixed_size: 0
    .kernarg_segment_align: 8
    .kernarg_segment_size: 36
    .language:       OpenCL C
    .language_version:
      - 2
      - 0
    .max_flat_workgroup_size: 512
    .name:           _ZN9rocsparseL11gthr_kernelILj512EilEEvT0_PKT1_PS2_PKS1_21rocsparse_index_base_
    .private_segment_fixed_size: 0
    .sgpr_count:     11
    .sgpr_spill_count: 0
    .symbol:         _ZN9rocsparseL11gthr_kernelILj512EilEEvT0_PKT1_PS2_PKS1_21rocsparse_index_base_.kd
    .uniform_work_group_size: 1
    .uses_dynamic_stack: false
    .vgpr_count:     5
    .vgpr_spill_count: 0
    .wavefront_size: 64
  - .args:
      - .offset:         0
        .size:           4
        .value_kind:     by_value
      - .address_space:  global
        .offset:         8
        .size:           8
        .value_kind:     global_buffer
      - .address_space:  global
        .offset:         16
        .size:           8
        .value_kind:     global_buffer
      - .address_space:  global
        .offset:         24
        .size:           8
        .value_kind:     global_buffer
      - .offset:         32
        .size:           4
        .value_kind:     by_value
    .group_segment_fixed_size: 0
    .kernarg_segment_align: 8
    .kernarg_segment_size: 36
    .language:       OpenCL C
    .language_version:
      - 2
      - 0
    .max_flat_workgroup_size: 512
    .name:           _ZN9rocsparseL11gthr_kernelILj512EiDF16_EEvT0_PKT1_PS2_PKS1_21rocsparse_index_base_
    .private_segment_fixed_size: 0
    .sgpr_count:     11
    .sgpr_spill_count: 0
    .symbol:         _ZN9rocsparseL11gthr_kernelILj512EiDF16_EEvT0_PKT1_PS2_PKS1_21rocsparse_index_base_.kd
    .uniform_work_group_size: 1
    .uses_dynamic_stack: false
    .vgpr_count:     5
    .vgpr_spill_count: 0
    .wavefront_size: 64
  - .args:
      - .offset:         0
        .size:           4
        .value_kind:     by_value
      - .address_space:  global
        .offset:         8
        .size:           8
        .value_kind:     global_buffer
      - .address_space:  global
        .offset:         16
        .size:           8
        .value_kind:     global_buffer
      - .address_space:  global
        .offset:         24
        .size:           8
        .value_kind:     global_buffer
      - .offset:         32
        .size:           4
        .value_kind:     by_value
    .group_segment_fixed_size: 0
    .kernarg_segment_align: 8
    .kernarg_segment_size: 36
    .language:       OpenCL C
    .language_version:
      - 2
      - 0
    .max_flat_workgroup_size: 512
    .name:           _ZN9rocsparseL11gthr_kernelILj512Ei18rocsparse_bfloat16EEvT0_PKT1_PS3_PKS2_21rocsparse_index_base_
    .private_segment_fixed_size: 0
    .sgpr_count:     11
    .sgpr_spill_count: 0
    .symbol:         _ZN9rocsparseL11gthr_kernelILj512Ei18rocsparse_bfloat16EEvT0_PKT1_PS3_PKS2_21rocsparse_index_base_.kd
    .uniform_work_group_size: 1
    .uses_dynamic_stack: false
    .vgpr_count:     5
    .vgpr_spill_count: 0
    .wavefront_size: 64
  - .args:
      - .offset:         0
        .size:           4
        .value_kind:     by_value
      - .address_space:  global
        .offset:         8
        .size:           8
        .value_kind:     global_buffer
      - .address_space:  global
        .offset:         16
        .size:           8
        .value_kind:     global_buffer
      - .address_space:  global
        .offset:         24
        .size:           8
        .value_kind:     global_buffer
      - .offset:         32
        .size:           4
        .value_kind:     by_value
    .group_segment_fixed_size: 0
    .kernarg_segment_align: 8
    .kernarg_segment_size: 36
    .language:       OpenCL C
    .language_version:
      - 2
      - 0
    .max_flat_workgroup_size: 512
    .name:           _ZN9rocsparseL11gthr_kernelILj512EifEEvT0_PKT1_PS2_PKS1_21rocsparse_index_base_
    .private_segment_fixed_size: 0
    .sgpr_count:     11
    .sgpr_spill_count: 0
    .symbol:         _ZN9rocsparseL11gthr_kernelILj512EifEEvT0_PKT1_PS2_PKS1_21rocsparse_index_base_.kd
    .uniform_work_group_size: 1
    .uses_dynamic_stack: false
    .vgpr_count:     5
    .vgpr_spill_count: 0
    .wavefront_size: 64
  - .args:
      - .offset:         0
        .size:           4
        .value_kind:     by_value
      - .address_space:  global
        .offset:         8
        .size:           8
        .value_kind:     global_buffer
      - .address_space:  global
        .offset:         16
        .size:           8
        .value_kind:     global_buffer
      - .address_space:  global
        .offset:         24
        .size:           8
        .value_kind:     global_buffer
      - .offset:         32
        .size:           4
        .value_kind:     by_value
    .group_segment_fixed_size: 0
    .kernarg_segment_align: 8
    .kernarg_segment_size: 36
    .language:       OpenCL C
    .language_version:
      - 2
      - 0
    .max_flat_workgroup_size: 512
    .name:           _ZN9rocsparseL11gthr_kernelILj512EidEEvT0_PKT1_PS2_PKS1_21rocsparse_index_base_
    .private_segment_fixed_size: 0
    .sgpr_count:     11
    .sgpr_spill_count: 0
    .symbol:         _ZN9rocsparseL11gthr_kernelILj512EidEEvT0_PKT1_PS2_PKS1_21rocsparse_index_base_.kd
    .uniform_work_group_size: 1
    .uses_dynamic_stack: false
    .vgpr_count:     5
    .vgpr_spill_count: 0
    .wavefront_size: 64
  - .args:
      - .offset:         0
        .size:           4
        .value_kind:     by_value
      - .address_space:  global
        .offset:         8
        .size:           8
        .value_kind:     global_buffer
      - .address_space:  global
        .offset:         16
        .size:           8
        .value_kind:     global_buffer
      - .address_space:  global
        .offset:         24
        .size:           8
        .value_kind:     global_buffer
      - .offset:         32
        .size:           4
        .value_kind:     by_value
    .group_segment_fixed_size: 0
    .kernarg_segment_align: 8
    .kernarg_segment_size: 36
    .language:       OpenCL C
    .language_version:
      - 2
      - 0
    .max_flat_workgroup_size: 512
    .name:           _ZN9rocsparseL11gthr_kernelILj512Ei21rocsparse_complex_numIfEEEvT0_PKT1_PS4_PKS3_21rocsparse_index_base_
    .private_segment_fixed_size: 0
    .sgpr_count:     11
    .sgpr_spill_count: 0
    .symbol:         _ZN9rocsparseL11gthr_kernelILj512Ei21rocsparse_complex_numIfEEEvT0_PKT1_PS4_PKS3_21rocsparse_index_base_.kd
    .uniform_work_group_size: 1
    .uses_dynamic_stack: false
    .vgpr_count:     5
    .vgpr_spill_count: 0
    .wavefront_size: 64
  - .args:
      - .offset:         0
        .size:           4
        .value_kind:     by_value
      - .address_space:  global
        .offset:         8
        .size:           8
        .value_kind:     global_buffer
      - .address_space:  global
        .offset:         16
        .size:           8
        .value_kind:     global_buffer
      - .address_space:  global
        .offset:         24
        .size:           8
        .value_kind:     global_buffer
      - .offset:         32
        .size:           4
        .value_kind:     by_value
    .group_segment_fixed_size: 0
    .kernarg_segment_align: 8
    .kernarg_segment_size: 36
    .language:       OpenCL C
    .language_version:
      - 2
      - 0
    .max_flat_workgroup_size: 512
    .name:           _ZN9rocsparseL11gthr_kernelILj512Ei21rocsparse_complex_numIdEEEvT0_PKT1_PS4_PKS3_21rocsparse_index_base_
    .private_segment_fixed_size: 0
    .sgpr_count:     11
    .sgpr_spill_count: 0
    .symbol:         _ZN9rocsparseL11gthr_kernelILj512Ei21rocsparse_complex_numIdEEEvT0_PKT1_PS4_PKS3_21rocsparse_index_base_.kd
    .uniform_work_group_size: 1
    .uses_dynamic_stack: false
    .vgpr_count:     7
    .vgpr_spill_count: 0
    .wavefront_size: 64
  - .args:
      - .offset:         0
        .size:           8
        .value_kind:     by_value
      - .address_space:  global
        .offset:         8
        .size:           8
        .value_kind:     global_buffer
      - .address_space:  global
        .offset:         16
        .size:           8
        .value_kind:     global_buffer
      - .address_space:  global
        .offset:         24
        .size:           8
        .value_kind:     global_buffer
      - .offset:         32
        .size:           4
        .value_kind:     by_value
    .group_segment_fixed_size: 0
    .kernarg_segment_align: 8
    .kernarg_segment_size: 36
    .language:       OpenCL C
    .language_version:
      - 2
      - 0
    .max_flat_workgroup_size: 512
    .name:           _ZN9rocsparseL11gthr_kernelILj512ElaEEvT0_PKT1_PS2_PKS1_21rocsparse_index_base_
    .private_segment_fixed_size: 0
    .sgpr_count:     20
    .sgpr_spill_count: 0
    .symbol:         _ZN9rocsparseL11gthr_kernelILj512ElaEEvT0_PKT1_PS2_PKS1_21rocsparse_index_base_.kd
    .uniform_work_group_size: 1
    .uses_dynamic_stack: false
    .vgpr_count:     4
    .vgpr_spill_count: 0
    .wavefront_size: 64
  - .args:
      - .offset:         0
        .size:           8
        .value_kind:     by_value
      - .address_space:  global
        .offset:         8
        .size:           8
        .value_kind:     global_buffer
      - .address_space:  global
        .offset:         16
        .size:           8
        .value_kind:     global_buffer
      - .address_space:  global
        .offset:         24
        .size:           8
        .value_kind:     global_buffer
      - .offset:         32
        .size:           4
        .value_kind:     by_value
    .group_segment_fixed_size: 0
    .kernarg_segment_align: 8
    .kernarg_segment_size: 36
    .language:       OpenCL C
    .language_version:
      - 2
      - 0
    .max_flat_workgroup_size: 512
    .name:           _ZN9rocsparseL11gthr_kernelILj512EliEEvT0_PKT1_PS2_PKS1_21rocsparse_index_base_
    .private_segment_fixed_size: 0
    .sgpr_count:     20
    .sgpr_spill_count: 0
    .symbol:         _ZN9rocsparseL11gthr_kernelILj512EliEEvT0_PKT1_PS2_PKS1_21rocsparse_index_base_.kd
    .uniform_work_group_size: 1
    .uses_dynamic_stack: false
    .vgpr_count:     5
    .vgpr_spill_count: 0
    .wavefront_size: 64
  - .args:
      - .offset:         0
        .size:           8
        .value_kind:     by_value
      - .address_space:  global
        .offset:         8
        .size:           8
        .value_kind:     global_buffer
      - .address_space:  global
        .offset:         16
        .size:           8
        .value_kind:     global_buffer
      - .address_space:  global
        .offset:         24
        .size:           8
        .value_kind:     global_buffer
      - .offset:         32
        .size:           4
        .value_kind:     by_value
    .group_segment_fixed_size: 0
    .kernarg_segment_align: 8
    .kernarg_segment_size: 36
    .language:       OpenCL C
    .language_version:
      - 2
      - 0
    .max_flat_workgroup_size: 512
    .name:           _ZN9rocsparseL11gthr_kernelILj512ElhEEvT0_PKT1_PS2_PKS1_21rocsparse_index_base_
    .private_segment_fixed_size: 0
    .sgpr_count:     20
    .sgpr_spill_count: 0
    .symbol:         _ZN9rocsparseL11gthr_kernelILj512ElhEEvT0_PKT1_PS2_PKS1_21rocsparse_index_base_.kd
    .uniform_work_group_size: 1
    .uses_dynamic_stack: false
    .vgpr_count:     4
    .vgpr_spill_count: 0
    .wavefront_size: 64
  - .args:
      - .offset:         0
        .size:           8
        .value_kind:     by_value
      - .address_space:  global
        .offset:         8
        .size:           8
        .value_kind:     global_buffer
      - .address_space:  global
        .offset:         16
        .size:           8
        .value_kind:     global_buffer
      - .address_space:  global
        .offset:         24
        .size:           8
        .value_kind:     global_buffer
      - .offset:         32
        .size:           4
        .value_kind:     by_value
    .group_segment_fixed_size: 0
    .kernarg_segment_align: 8
    .kernarg_segment_size: 36
    .language:       OpenCL C
    .language_version:
      - 2
      - 0
    .max_flat_workgroup_size: 512
    .name:           _ZN9rocsparseL11gthr_kernelILj512EljEEvT0_PKT1_PS2_PKS1_21rocsparse_index_base_
    .private_segment_fixed_size: 0
    .sgpr_count:     20
    .sgpr_spill_count: 0
    .symbol:         _ZN9rocsparseL11gthr_kernelILj512EljEEvT0_PKT1_PS2_PKS1_21rocsparse_index_base_.kd
    .uniform_work_group_size: 1
    .uses_dynamic_stack: false
    .vgpr_count:     5
    .vgpr_spill_count: 0
    .wavefront_size: 64
  - .args:
      - .offset:         0
        .size:           8
        .value_kind:     by_value
      - .address_space:  global
        .offset:         8
        .size:           8
        .value_kind:     global_buffer
      - .address_space:  global
        .offset:         16
        .size:           8
        .value_kind:     global_buffer
      - .address_space:  global
        .offset:         24
        .size:           8
        .value_kind:     global_buffer
      - .offset:         32
        .size:           4
        .value_kind:     by_value
    .group_segment_fixed_size: 0
    .kernarg_segment_align: 8
    .kernarg_segment_size: 36
    .language:       OpenCL C
    .language_version:
      - 2
      - 0
    .max_flat_workgroup_size: 512
    .name:           _ZN9rocsparseL11gthr_kernelILj512EllEEvT0_PKT1_PS2_PKS1_21rocsparse_index_base_
    .private_segment_fixed_size: 0
    .sgpr_count:     20
    .sgpr_spill_count: 0
    .symbol:         _ZN9rocsparseL11gthr_kernelILj512EllEEvT0_PKT1_PS2_PKS1_21rocsparse_index_base_.kd
    .uniform_work_group_size: 1
    .uses_dynamic_stack: false
    .vgpr_count:     5
    .vgpr_spill_count: 0
    .wavefront_size: 64
  - .args:
      - .offset:         0
        .size:           8
        .value_kind:     by_value
      - .address_space:  global
        .offset:         8
        .size:           8
        .value_kind:     global_buffer
      - .address_space:  global
        .offset:         16
        .size:           8
        .value_kind:     global_buffer
      - .address_space:  global
        .offset:         24
        .size:           8
        .value_kind:     global_buffer
      - .offset:         32
        .size:           4
        .value_kind:     by_value
    .group_segment_fixed_size: 0
    .kernarg_segment_align: 8
    .kernarg_segment_size: 36
    .language:       OpenCL C
    .language_version:
      - 2
      - 0
    .max_flat_workgroup_size: 512
    .name:           _ZN9rocsparseL11gthr_kernelILj512ElDF16_EEvT0_PKT1_PS2_PKS1_21rocsparse_index_base_
    .private_segment_fixed_size: 0
    .sgpr_count:     20
    .sgpr_spill_count: 0
    .symbol:         _ZN9rocsparseL11gthr_kernelILj512ElDF16_EEvT0_PKT1_PS2_PKS1_21rocsparse_index_base_.kd
    .uniform_work_group_size: 1
    .uses_dynamic_stack: false
    .vgpr_count:     5
    .vgpr_spill_count: 0
    .wavefront_size: 64
  - .args:
      - .offset:         0
        .size:           8
        .value_kind:     by_value
      - .address_space:  global
        .offset:         8
        .size:           8
        .value_kind:     global_buffer
      - .address_space:  global
        .offset:         16
        .size:           8
        .value_kind:     global_buffer
      - .address_space:  global
        .offset:         24
        .size:           8
        .value_kind:     global_buffer
      - .offset:         32
        .size:           4
        .value_kind:     by_value
    .group_segment_fixed_size: 0
    .kernarg_segment_align: 8
    .kernarg_segment_size: 36
    .language:       OpenCL C
    .language_version:
      - 2
      - 0
    .max_flat_workgroup_size: 512
    .name:           _ZN9rocsparseL11gthr_kernelILj512El18rocsparse_bfloat16EEvT0_PKT1_PS3_PKS2_21rocsparse_index_base_
    .private_segment_fixed_size: 0
    .sgpr_count:     20
    .sgpr_spill_count: 0
    .symbol:         _ZN9rocsparseL11gthr_kernelILj512El18rocsparse_bfloat16EEvT0_PKT1_PS3_PKS2_21rocsparse_index_base_.kd
    .uniform_work_group_size: 1
    .uses_dynamic_stack: false
    .vgpr_count:     5
    .vgpr_spill_count: 0
    .wavefront_size: 64
  - .args:
      - .offset:         0
        .size:           8
        .value_kind:     by_value
      - .address_space:  global
        .offset:         8
        .size:           8
        .value_kind:     global_buffer
      - .address_space:  global
        .offset:         16
        .size:           8
        .value_kind:     global_buffer
      - .address_space:  global
        .offset:         24
        .size:           8
        .value_kind:     global_buffer
      - .offset:         32
        .size:           4
        .value_kind:     by_value
    .group_segment_fixed_size: 0
    .kernarg_segment_align: 8
    .kernarg_segment_size: 36
    .language:       OpenCL C
    .language_version:
      - 2
      - 0
    .max_flat_workgroup_size: 512
    .name:           _ZN9rocsparseL11gthr_kernelILj512ElfEEvT0_PKT1_PS2_PKS1_21rocsparse_index_base_
    .private_segment_fixed_size: 0
    .sgpr_count:     20
    .sgpr_spill_count: 0
    .symbol:         _ZN9rocsparseL11gthr_kernelILj512ElfEEvT0_PKT1_PS2_PKS1_21rocsparse_index_base_.kd
    .uniform_work_group_size: 1
    .uses_dynamic_stack: false
    .vgpr_count:     5
    .vgpr_spill_count: 0
    .wavefront_size: 64
  - .args:
      - .offset:         0
        .size:           8
        .value_kind:     by_value
      - .address_space:  global
        .offset:         8
        .size:           8
        .value_kind:     global_buffer
      - .address_space:  global
        .offset:         16
        .size:           8
        .value_kind:     global_buffer
      - .address_space:  global
        .offset:         24
        .size:           8
        .value_kind:     global_buffer
      - .offset:         32
        .size:           4
        .value_kind:     by_value
    .group_segment_fixed_size: 0
    .kernarg_segment_align: 8
    .kernarg_segment_size: 36
    .language:       OpenCL C
    .language_version:
      - 2
      - 0
    .max_flat_workgroup_size: 512
    .name:           _ZN9rocsparseL11gthr_kernelILj512EldEEvT0_PKT1_PS2_PKS1_21rocsparse_index_base_
    .private_segment_fixed_size: 0
    .sgpr_count:     20
    .sgpr_spill_count: 0
    .symbol:         _ZN9rocsparseL11gthr_kernelILj512EldEEvT0_PKT1_PS2_PKS1_21rocsparse_index_base_.kd
    .uniform_work_group_size: 1
    .uses_dynamic_stack: false
    .vgpr_count:     5
    .vgpr_spill_count: 0
    .wavefront_size: 64
  - .args:
      - .offset:         0
        .size:           8
        .value_kind:     by_value
      - .address_space:  global
        .offset:         8
        .size:           8
        .value_kind:     global_buffer
      - .address_space:  global
        .offset:         16
        .size:           8
        .value_kind:     global_buffer
      - .address_space:  global
        .offset:         24
        .size:           8
        .value_kind:     global_buffer
      - .offset:         32
        .size:           4
        .value_kind:     by_value
    .group_segment_fixed_size: 0
    .kernarg_segment_align: 8
    .kernarg_segment_size: 36
    .language:       OpenCL C
    .language_version:
      - 2
      - 0
    .max_flat_workgroup_size: 512
    .name:           _ZN9rocsparseL11gthr_kernelILj512El21rocsparse_complex_numIfEEEvT0_PKT1_PS4_PKS3_21rocsparse_index_base_
    .private_segment_fixed_size: 0
    .sgpr_count:     20
    .sgpr_spill_count: 0
    .symbol:         _ZN9rocsparseL11gthr_kernelILj512El21rocsparse_complex_numIfEEEvT0_PKT1_PS4_PKS3_21rocsparse_index_base_.kd
    .uniform_work_group_size: 1
    .uses_dynamic_stack: false
    .vgpr_count:     5
    .vgpr_spill_count: 0
    .wavefront_size: 64
  - .args:
      - .offset:         0
        .size:           8
        .value_kind:     by_value
      - .address_space:  global
        .offset:         8
        .size:           8
        .value_kind:     global_buffer
      - .address_space:  global
        .offset:         16
        .size:           8
        .value_kind:     global_buffer
      - .address_space:  global
        .offset:         24
        .size:           8
        .value_kind:     global_buffer
      - .offset:         32
        .size:           4
        .value_kind:     by_value
    .group_segment_fixed_size: 0
    .kernarg_segment_align: 8
    .kernarg_segment_size: 36
    .language:       OpenCL C
    .language_version:
      - 2
      - 0
    .max_flat_workgroup_size: 512
    .name:           _ZN9rocsparseL11gthr_kernelILj512El21rocsparse_complex_numIdEEEvT0_PKT1_PS4_PKS3_21rocsparse_index_base_
    .private_segment_fixed_size: 0
    .sgpr_count:     20
    .sgpr_spill_count: 0
    .symbol:         _ZN9rocsparseL11gthr_kernelILj512El21rocsparse_complex_numIdEEEvT0_PKT1_PS4_PKS3_21rocsparse_index_base_.kd
    .uniform_work_group_size: 1
    .uses_dynamic_stack: false
    .vgpr_count:     7
    .vgpr_spill_count: 0
    .wavefront_size: 64
amdhsa.target:   amdgcn-amd-amdhsa--gfx906
amdhsa.version:
  - 1
  - 2
...

	.end_amdgpu_metadata
